;; amdgpu-corpus repo=ROCm/rocFFT kind=compiled arch=gfx1100 opt=O3
	.text
	.amdgcn_target "amdgcn-amd-amdhsa--gfx1100"
	.amdhsa_code_object_version 6
	.protected	fft_rtc_fwd_len1008_factors_2_2_2_2_3_3_7_wgs_56_tpt_56_halfLds_half_ip_CI_unitstride_sbrr_C2R_dirReg ; -- Begin function fft_rtc_fwd_len1008_factors_2_2_2_2_3_3_7_wgs_56_tpt_56_halfLds_half_ip_CI_unitstride_sbrr_C2R_dirReg
	.globl	fft_rtc_fwd_len1008_factors_2_2_2_2_3_3_7_wgs_56_tpt_56_halfLds_half_ip_CI_unitstride_sbrr_C2R_dirReg
	.p2align	8
	.type	fft_rtc_fwd_len1008_factors_2_2_2_2_3_3_7_wgs_56_tpt_56_halfLds_half_ip_CI_unitstride_sbrr_C2R_dirReg,@function
fft_rtc_fwd_len1008_factors_2_2_2_2_3_3_7_wgs_56_tpt_56_halfLds_half_ip_CI_unitstride_sbrr_C2R_dirReg: ; @fft_rtc_fwd_len1008_factors_2_2_2_2_3_3_7_wgs_56_tpt_56_halfLds_half_ip_CI_unitstride_sbrr_C2R_dirReg
; %bb.0:
	s_clause 0x2
	s_load_b128 s[4:7], s[0:1], 0x0
	s_load_b64 s[8:9], s[0:1], 0x50
	s_load_b64 s[10:11], s[0:1], 0x18
	v_mul_u32_u24_e32 v1, 0x493, v0
	v_mov_b32_e32 v3, 0
	v_mov_b32_e32 v4, 0
	s_delay_alu instid0(VALU_DEP_3) | instskip(SKIP_1) | instid1(VALU_DEP_1)
	v_lshrrev_b32_e32 v2, 16, v1
	v_mov_b32_e32 v1, 0
	v_dual_mov_b32 v6, v1 :: v_dual_add_nc_u32 v5, s15, v2
	s_waitcnt lgkmcnt(0)
	v_cmp_lt_u64_e64 s2, s[6:7], 2
	s_delay_alu instid0(VALU_DEP_1)
	s_and_b32 vcc_lo, exec_lo, s2
	s_cbranch_vccnz .LBB0_8
; %bb.1:
	s_load_b64 s[2:3], s[0:1], 0x10
	v_mov_b32_e32 v3, 0
	s_add_u32 s12, s10, 8
	v_mov_b32_e32 v4, 0
	s_addc_u32 s13, s11, 0
	s_mov_b64 s[16:17], 1
	s_waitcnt lgkmcnt(0)
	s_add_u32 s14, s2, 8
	s_addc_u32 s15, s3, 0
.LBB0_2:                                ; =>This Inner Loop Header: Depth=1
	s_load_b64 s[18:19], s[14:15], 0x0
                                        ; implicit-def: $vgpr7_vgpr8
	s_mov_b32 s2, exec_lo
	s_waitcnt lgkmcnt(0)
	v_or_b32_e32 v2, s19, v6
	s_delay_alu instid0(VALU_DEP_1)
	v_cmpx_ne_u64_e32 0, v[1:2]
	s_xor_b32 s3, exec_lo, s2
	s_cbranch_execz .LBB0_4
; %bb.3:                                ;   in Loop: Header=BB0_2 Depth=1
	v_cvt_f32_u32_e32 v2, s18
	v_cvt_f32_u32_e32 v7, s19
	s_sub_u32 s2, 0, s18
	s_subb_u32 s20, 0, s19
	s_delay_alu instid0(VALU_DEP_1) | instskip(NEXT) | instid1(VALU_DEP_1)
	v_fmac_f32_e32 v2, 0x4f800000, v7
	v_rcp_f32_e32 v2, v2
	s_waitcnt_depctr 0xfff
	v_mul_f32_e32 v2, 0x5f7ffffc, v2
	s_delay_alu instid0(VALU_DEP_1) | instskip(NEXT) | instid1(VALU_DEP_1)
	v_mul_f32_e32 v7, 0x2f800000, v2
	v_trunc_f32_e32 v7, v7
	s_delay_alu instid0(VALU_DEP_1) | instskip(SKIP_1) | instid1(VALU_DEP_2)
	v_fmac_f32_e32 v2, 0xcf800000, v7
	v_cvt_u32_f32_e32 v7, v7
	v_cvt_u32_f32_e32 v2, v2
	s_delay_alu instid0(VALU_DEP_2) | instskip(NEXT) | instid1(VALU_DEP_2)
	v_mul_lo_u32 v8, s2, v7
	v_mul_hi_u32 v9, s2, v2
	v_mul_lo_u32 v10, s20, v2
	s_delay_alu instid0(VALU_DEP_2) | instskip(SKIP_1) | instid1(VALU_DEP_2)
	v_add_nc_u32_e32 v8, v9, v8
	v_mul_lo_u32 v9, s2, v2
	v_add_nc_u32_e32 v8, v8, v10
	s_delay_alu instid0(VALU_DEP_2) | instskip(NEXT) | instid1(VALU_DEP_2)
	v_mul_hi_u32 v10, v2, v9
	v_mul_lo_u32 v11, v2, v8
	v_mul_hi_u32 v12, v2, v8
	v_mul_hi_u32 v13, v7, v9
	v_mul_lo_u32 v9, v7, v9
	v_mul_hi_u32 v14, v7, v8
	v_mul_lo_u32 v8, v7, v8
	v_add_co_u32 v10, vcc_lo, v10, v11
	v_add_co_ci_u32_e32 v11, vcc_lo, 0, v12, vcc_lo
	s_delay_alu instid0(VALU_DEP_2) | instskip(NEXT) | instid1(VALU_DEP_2)
	v_add_co_u32 v9, vcc_lo, v10, v9
	v_add_co_ci_u32_e32 v9, vcc_lo, v11, v13, vcc_lo
	v_add_co_ci_u32_e32 v10, vcc_lo, 0, v14, vcc_lo
	s_delay_alu instid0(VALU_DEP_2) | instskip(NEXT) | instid1(VALU_DEP_2)
	v_add_co_u32 v8, vcc_lo, v9, v8
	v_add_co_ci_u32_e32 v9, vcc_lo, 0, v10, vcc_lo
	s_delay_alu instid0(VALU_DEP_2) | instskip(NEXT) | instid1(VALU_DEP_2)
	v_add_co_u32 v2, vcc_lo, v2, v8
	v_add_co_ci_u32_e32 v7, vcc_lo, v7, v9, vcc_lo
	s_delay_alu instid0(VALU_DEP_2) | instskip(SKIP_1) | instid1(VALU_DEP_3)
	v_mul_hi_u32 v8, s2, v2
	v_mul_lo_u32 v10, s20, v2
	v_mul_lo_u32 v9, s2, v7
	s_delay_alu instid0(VALU_DEP_1) | instskip(SKIP_1) | instid1(VALU_DEP_2)
	v_add_nc_u32_e32 v8, v8, v9
	v_mul_lo_u32 v9, s2, v2
	v_add_nc_u32_e32 v8, v8, v10
	s_delay_alu instid0(VALU_DEP_2) | instskip(NEXT) | instid1(VALU_DEP_2)
	v_mul_hi_u32 v10, v2, v9
	v_mul_lo_u32 v11, v2, v8
	v_mul_hi_u32 v12, v2, v8
	v_mul_hi_u32 v13, v7, v9
	v_mul_lo_u32 v9, v7, v9
	v_mul_hi_u32 v14, v7, v8
	v_mul_lo_u32 v8, v7, v8
	v_add_co_u32 v10, vcc_lo, v10, v11
	v_add_co_ci_u32_e32 v11, vcc_lo, 0, v12, vcc_lo
	s_delay_alu instid0(VALU_DEP_2) | instskip(NEXT) | instid1(VALU_DEP_2)
	v_add_co_u32 v9, vcc_lo, v10, v9
	v_add_co_ci_u32_e32 v9, vcc_lo, v11, v13, vcc_lo
	v_add_co_ci_u32_e32 v10, vcc_lo, 0, v14, vcc_lo
	s_delay_alu instid0(VALU_DEP_2) | instskip(NEXT) | instid1(VALU_DEP_2)
	v_add_co_u32 v8, vcc_lo, v9, v8
	v_add_co_ci_u32_e32 v9, vcc_lo, 0, v10, vcc_lo
	s_delay_alu instid0(VALU_DEP_2) | instskip(NEXT) | instid1(VALU_DEP_2)
	v_add_co_u32 v2, vcc_lo, v2, v8
	v_add_co_ci_u32_e32 v13, vcc_lo, v7, v9, vcc_lo
	s_delay_alu instid0(VALU_DEP_2) | instskip(SKIP_1) | instid1(VALU_DEP_3)
	v_mul_hi_u32 v14, v5, v2
	v_mad_u64_u32 v[9:10], null, v6, v2, 0
	v_mad_u64_u32 v[7:8], null, v5, v13, 0
	;; [unrolled: 1-line block ×3, first 2 shown]
	s_delay_alu instid0(VALU_DEP_2) | instskip(NEXT) | instid1(VALU_DEP_3)
	v_add_co_u32 v2, vcc_lo, v14, v7
	v_add_co_ci_u32_e32 v7, vcc_lo, 0, v8, vcc_lo
	s_delay_alu instid0(VALU_DEP_2) | instskip(NEXT) | instid1(VALU_DEP_2)
	v_add_co_u32 v2, vcc_lo, v2, v9
	v_add_co_ci_u32_e32 v2, vcc_lo, v7, v10, vcc_lo
	v_add_co_ci_u32_e32 v7, vcc_lo, 0, v12, vcc_lo
	s_delay_alu instid0(VALU_DEP_2) | instskip(NEXT) | instid1(VALU_DEP_2)
	v_add_co_u32 v2, vcc_lo, v2, v11
	v_add_co_ci_u32_e32 v9, vcc_lo, 0, v7, vcc_lo
	s_delay_alu instid0(VALU_DEP_2) | instskip(SKIP_1) | instid1(VALU_DEP_3)
	v_mul_lo_u32 v10, s19, v2
	v_mad_u64_u32 v[7:8], null, s18, v2, 0
	v_mul_lo_u32 v11, s18, v9
	s_delay_alu instid0(VALU_DEP_2) | instskip(NEXT) | instid1(VALU_DEP_2)
	v_sub_co_u32 v7, vcc_lo, v5, v7
	v_add3_u32 v8, v8, v11, v10
	s_delay_alu instid0(VALU_DEP_1) | instskip(NEXT) | instid1(VALU_DEP_1)
	v_sub_nc_u32_e32 v10, v6, v8
	v_subrev_co_ci_u32_e64 v10, s2, s19, v10, vcc_lo
	v_add_co_u32 v11, s2, v2, 2
	s_delay_alu instid0(VALU_DEP_1) | instskip(SKIP_3) | instid1(VALU_DEP_3)
	v_add_co_ci_u32_e64 v12, s2, 0, v9, s2
	v_sub_co_u32 v13, s2, v7, s18
	v_sub_co_ci_u32_e32 v8, vcc_lo, v6, v8, vcc_lo
	v_subrev_co_ci_u32_e64 v10, s2, 0, v10, s2
	v_cmp_le_u32_e32 vcc_lo, s18, v13
	s_delay_alu instid0(VALU_DEP_3) | instskip(SKIP_1) | instid1(VALU_DEP_4)
	v_cmp_eq_u32_e64 s2, s19, v8
	v_cndmask_b32_e64 v13, 0, -1, vcc_lo
	v_cmp_le_u32_e32 vcc_lo, s19, v10
	v_cndmask_b32_e64 v14, 0, -1, vcc_lo
	v_cmp_le_u32_e32 vcc_lo, s18, v7
	;; [unrolled: 2-line block ×3, first 2 shown]
	v_cndmask_b32_e64 v15, 0, -1, vcc_lo
	v_cmp_eq_u32_e32 vcc_lo, s19, v10
	s_delay_alu instid0(VALU_DEP_2) | instskip(SKIP_3) | instid1(VALU_DEP_3)
	v_cndmask_b32_e64 v7, v15, v7, s2
	v_cndmask_b32_e32 v10, v14, v13, vcc_lo
	v_add_co_u32 v13, vcc_lo, v2, 1
	v_add_co_ci_u32_e32 v14, vcc_lo, 0, v9, vcc_lo
	v_cmp_ne_u32_e32 vcc_lo, 0, v10
	s_delay_alu instid0(VALU_DEP_2) | instskip(NEXT) | instid1(VALU_DEP_4)
	v_cndmask_b32_e32 v8, v14, v12, vcc_lo
	v_cndmask_b32_e32 v10, v13, v11, vcc_lo
	v_cmp_ne_u32_e32 vcc_lo, 0, v7
	s_delay_alu instid0(VALU_DEP_2)
	v_dual_cndmask_b32 v7, v2, v10 :: v_dual_cndmask_b32 v8, v9, v8
.LBB0_4:                                ;   in Loop: Header=BB0_2 Depth=1
	s_and_not1_saveexec_b32 s2, s3
	s_cbranch_execz .LBB0_6
; %bb.5:                                ;   in Loop: Header=BB0_2 Depth=1
	v_cvt_f32_u32_e32 v2, s18
	s_sub_i32 s3, 0, s18
	s_delay_alu instid0(VALU_DEP_1) | instskip(SKIP_2) | instid1(VALU_DEP_1)
	v_rcp_iflag_f32_e32 v2, v2
	s_waitcnt_depctr 0xfff
	v_mul_f32_e32 v2, 0x4f7ffffe, v2
	v_cvt_u32_f32_e32 v2, v2
	s_delay_alu instid0(VALU_DEP_1) | instskip(NEXT) | instid1(VALU_DEP_1)
	v_mul_lo_u32 v7, s3, v2
	v_mul_hi_u32 v7, v2, v7
	s_delay_alu instid0(VALU_DEP_1) | instskip(NEXT) | instid1(VALU_DEP_1)
	v_add_nc_u32_e32 v2, v2, v7
	v_mul_hi_u32 v2, v5, v2
	s_delay_alu instid0(VALU_DEP_1) | instskip(SKIP_1) | instid1(VALU_DEP_2)
	v_mul_lo_u32 v7, v2, s18
	v_add_nc_u32_e32 v8, 1, v2
	v_sub_nc_u32_e32 v7, v5, v7
	s_delay_alu instid0(VALU_DEP_1) | instskip(SKIP_1) | instid1(VALU_DEP_2)
	v_subrev_nc_u32_e32 v9, s18, v7
	v_cmp_le_u32_e32 vcc_lo, s18, v7
	v_dual_cndmask_b32 v7, v7, v9 :: v_dual_cndmask_b32 v2, v2, v8
	s_delay_alu instid0(VALU_DEP_1) | instskip(NEXT) | instid1(VALU_DEP_2)
	v_cmp_le_u32_e32 vcc_lo, s18, v7
	v_add_nc_u32_e32 v8, 1, v2
	s_delay_alu instid0(VALU_DEP_1)
	v_dual_cndmask_b32 v7, v2, v8 :: v_dual_mov_b32 v8, v1
.LBB0_6:                                ;   in Loop: Header=BB0_2 Depth=1
	s_or_b32 exec_lo, exec_lo, s2
	s_load_b64 s[2:3], s[12:13], 0x0
	s_delay_alu instid0(VALU_DEP_1) | instskip(NEXT) | instid1(VALU_DEP_2)
	v_mul_lo_u32 v2, v8, s18
	v_mul_lo_u32 v11, v7, s19
	v_mad_u64_u32 v[9:10], null, v7, s18, 0
	s_add_u32 s16, s16, 1
	s_addc_u32 s17, s17, 0
	s_add_u32 s12, s12, 8
	s_addc_u32 s13, s13, 0
	;; [unrolled: 2-line block ×3, first 2 shown]
	s_delay_alu instid0(VALU_DEP_1) | instskip(SKIP_1) | instid1(VALU_DEP_2)
	v_add3_u32 v2, v10, v11, v2
	v_sub_co_u32 v9, vcc_lo, v5, v9
	v_sub_co_ci_u32_e32 v2, vcc_lo, v6, v2, vcc_lo
	s_waitcnt lgkmcnt(0)
	s_delay_alu instid0(VALU_DEP_2) | instskip(NEXT) | instid1(VALU_DEP_2)
	v_mul_lo_u32 v10, s3, v9
	v_mul_lo_u32 v2, s2, v2
	v_mad_u64_u32 v[5:6], null, s2, v9, v[3:4]
	v_cmp_ge_u64_e64 s2, s[16:17], s[6:7]
	s_delay_alu instid0(VALU_DEP_1) | instskip(NEXT) | instid1(VALU_DEP_2)
	s_and_b32 vcc_lo, exec_lo, s2
	v_add3_u32 v4, v10, v6, v2
	s_delay_alu instid0(VALU_DEP_3)
	v_mov_b32_e32 v3, v5
	s_cbranch_vccnz .LBB0_9
; %bb.7:                                ;   in Loop: Header=BB0_2 Depth=1
	v_dual_mov_b32 v5, v7 :: v_dual_mov_b32 v6, v8
	s_branch .LBB0_2
.LBB0_8:
	v_dual_mov_b32 v8, v6 :: v_dual_mov_b32 v7, v5
.LBB0_9:
	s_lshl_b64 s[2:3], s[6:7], 3
	s_delay_alu instid0(SALU_CYCLE_1)
	s_add_u32 s2, s10, s2
	s_addc_u32 s3, s11, s3
	s_load_b64 s[2:3], s[2:3], 0x0
	s_load_b64 s[0:1], s[0:1], 0x20
	s_waitcnt lgkmcnt(0)
	v_mul_lo_u32 v5, s2, v8
	v_mul_lo_u32 v6, s3, v7
	v_mad_u64_u32 v[1:2], null, s2, v7, v[3:4]
	v_mul_hi_u32 v3, 0x4924925, v0
	v_cmp_gt_u64_e32 vcc_lo, s[0:1], v[7:8]
	s_delay_alu instid0(VALU_DEP_3) | instskip(NEXT) | instid1(VALU_DEP_3)
	v_add3_u32 v2, v6, v2, v5
	v_mul_u32_u24_e32 v4, 56, v3
	s_delay_alu instid0(VALU_DEP_2) | instskip(NEXT) | instid1(VALU_DEP_2)
	v_lshlrev_b64 v[2:3], 2, v[1:2]
	v_sub_nc_u32_e32 v0, v0, v4
	s_and_saveexec_b32 s1, vcc_lo
	s_cbranch_execz .LBB0_13
; %bb.10:
	v_mov_b32_e32 v1, 0
	s_delay_alu instid0(VALU_DEP_3) | instskip(NEXT) | instid1(VALU_DEP_1)
	v_add_co_u32 v4, s0, s8, v2
	v_add_co_ci_u32_e64 v5, s0, s9, v3, s0
	s_delay_alu instid0(VALU_DEP_3) | instskip(SKIP_1) | instid1(VALU_DEP_1)
	v_lshlrev_b64 v[6:7], 2, v[0:1]
	s_mov_b32 s2, exec_lo
	v_add_co_u32 v6, s0, v4, v6
	s_delay_alu instid0(VALU_DEP_1)
	v_add_co_ci_u32_e64 v7, s0, v5, v7, s0
	s_clause 0x11
	global_load_b32 v8, v[6:7], off
	global_load_b32 v9, v[6:7], off offset:224
	global_load_b32 v10, v[6:7], off offset:448
	;; [unrolled: 1-line block ×17, first 2 shown]
	v_lshl_add_u32 v7, v0, 2, 0
	s_delay_alu instid0(VALU_DEP_1)
	v_add_nc_u32_e32 v26, 0x400, v7
	v_add_nc_u32_e32 v25, 0x200, v7
	;; [unrolled: 1-line block ×4, first 2 shown]
	s_waitcnt vmcnt(16)
	ds_store_2addr_b32 v7, v8, v9 offset1:56
	s_waitcnt vmcnt(14)
	ds_store_2addr_b32 v7, v10, v11 offset0:112 offset1:168
	s_waitcnt vmcnt(12)
	ds_store_2addr_b32 v25, v12, v13 offset0:96 offset1:152
	;; [unrolled: 2-line block ×8, first 2 shown]
	v_cmpx_eq_u32_e32 55, v0
	s_cbranch_execz .LBB0_12
; %bb.11:
	global_load_b32 v4, v[4:5], off offset:4032
	v_mov_b32_e32 v0, 55
	s_waitcnt vmcnt(0)
	ds_store_b32 v1, v4 offset:4032
.LBB0_12:
	s_or_b32 exec_lo, exec_lo, s2
.LBB0_13:
	s_delay_alu instid0(SALU_CYCLE_1) | instskip(NEXT) | instid1(VALU_DEP_1)
	s_or_b32 exec_lo, exec_lo, s1
	v_lshlrev_b32_e32 v1, 2, v0
	s_waitcnt lgkmcnt(0)
	s_barrier
	buffer_gl0_inv
	s_mov_b32 s1, exec_lo
	v_add_nc_u32_e32 v24, 0, v1
	v_sub_nc_u32_e32 v9, 0, v1
                                        ; implicit-def: $vgpr4_vgpr5
	ds_load_u16 v8, v24
	ds_load_u16 v10, v9 offset:4032
	s_waitcnt lgkmcnt(0)
	v_add_f16_e32 v7, v10, v8
	v_sub_f16_e32 v6, v8, v10
	v_cmpx_ne_u32_e32 0, v0
	s_xor_b32 s1, exec_lo, s1
	s_cbranch_execz .LBB0_15
; %bb.14:
	v_mov_b32_e32 v1, 0
	v_add_f16_e32 v7, v10, v8
	v_sub_f16_e32 v8, v8, v10
	s_delay_alu instid0(VALU_DEP_3) | instskip(NEXT) | instid1(VALU_DEP_1)
	v_lshlrev_b64 v[4:5], 2, v[0:1]
	v_add_co_u32 v4, s0, s4, v4
	s_delay_alu instid0(VALU_DEP_1)
	v_add_co_ci_u32_e64 v5, s0, s5, v5, s0
	global_load_b32 v4, v[4:5], off offset:4024
	ds_load_u16 v5, v9 offset:4034
	ds_load_u16 v6, v24 offset:2
	s_waitcnt lgkmcnt(0)
	v_add_f16_e32 v10, v5, v6
	v_sub_f16_e32 v5, v6, v5
	s_waitcnt vmcnt(0)
	v_lshrrev_b32_e32 v11, 16, v4
	s_delay_alu instid0(VALU_DEP_1) | instskip(NEXT) | instid1(VALU_DEP_3)
	v_fma_f16 v12, -v8, v11, v7
	v_fma_f16 v13, v10, v11, -v5
	v_fma_f16 v6, v10, v11, v5
	v_fma_f16 v7, v8, v11, v7
	s_delay_alu instid0(VALU_DEP_4) | instskip(NEXT) | instid1(VALU_DEP_4)
	v_fmac_f16_e32 v12, v4, v10
	v_fmac_f16_e32 v13, v8, v4
	s_delay_alu instid0(VALU_DEP_4) | instskip(NEXT) | instid1(VALU_DEP_4)
	v_fmac_f16_e32 v6, v8, v4
	v_fma_f16 v7, -v4, v10, v7
	v_dual_mov_b32 v5, v1 :: v_dual_mov_b32 v4, v0
	s_delay_alu instid0(VALU_DEP_4)
	v_pack_b32_f16 v8, v12, v13
	ds_store_b32 v9, v8 offset:4032
.LBB0_15:
	s_and_not1_saveexec_b32 s0, s1
	s_cbranch_execz .LBB0_17
; %bb.16:
	v_mov_b32_e32 v1, 0
	ds_load_b32 v4, v1 offset:2016
	s_waitcnt lgkmcnt(0)
	v_pk_mul_f16 v8, 0xc0004000, v4
	v_mov_b32_e32 v4, 0
	v_mov_b32_e32 v5, 0
	ds_store_b32 v1, v8 offset:2016
.LBB0_17:
	s_or_b32 exec_lo, exec_lo, s0
	v_lshlrev_b64 v[4:5], 2, v[4:5]
	s_add_u32 s0, s4, 0xfb8
	s_addc_u32 s1, s5, 0
	v_perm_b32 v6, v6, v7, 0x5040100
	v_add_nc_u32_e32 v25, 0x400, v24
	v_add_nc_u32_e32 v26, 0x800, v24
	v_add_co_u32 v4, s0, s0, v4
	s_delay_alu instid0(VALU_DEP_1)
	v_add_co_ci_u32_e64 v5, s0, s1, v5, s0
	v_add_nc_u32_e32 v27, 0xc00, v24
	v_and_b32_e32 v35, 1, v0
	v_add_nc_u32_e32 v23, 0x150, v0
	s_clause 0x5
	global_load_b32 v1, v[4:5], off offset:224
	global_load_b32 v8, v[4:5], off offset:448
	;; [unrolled: 1-line block ×6, first 2 shown]
	ds_store_b32 v24, v6
	global_load_b32 v6, v[4:5], off offset:1568
	ds_load_b32 v7, v24 offset:224
	ds_load_b32 v14, v9 offset:3808
	global_load_b32 v4, v[4:5], off offset:1792
	v_add_nc_u32_e32 v32, 0x188, v0
	v_or_b32_e32 v33, 0x1c0, v0
	v_lshl_add_u32 v34, v0, 2, v24
	v_lshlrev_b32_e32 v44, 2, v35
	v_lshl_add_u32 v41, v23, 3, 0
	v_lshl_add_u32 v42, v32, 3, 0
	;; [unrolled: 1-line block ×3, first 2 shown]
	v_lshlrev_b32_e32 v23, 1, v23
	v_lshlrev_b32_e32 v32, 1, v32
	;; [unrolled: 1-line block ×3, first 2 shown]
	v_cmp_gt_u32_e64 s0, 48, v0
	s_waitcnt lgkmcnt(1)
	v_lshrrev_b32_e32 v15, 16, v7
	s_waitcnt lgkmcnt(0)
	v_lshrrev_b32_e32 v16, 16, v14
	v_add_f16_e32 v5, v7, v14
	v_sub_f16_e32 v7, v7, v14
	s_delay_alu instid0(VALU_DEP_3) | instskip(SKIP_3) | instid1(VALU_DEP_1)
	v_add_f16_e32 v14, v16, v15
	v_sub_f16_e32 v15, v15, v16
	s_waitcnt vmcnt(7)
	v_lshrrev_b32_e32 v17, 16, v1
	v_fma_f16 v16, v7, v17, v5
	s_delay_alu instid0(VALU_DEP_3) | instskip(SKIP_2) | instid1(VALU_DEP_4)
	v_fma_f16 v18, v14, v17, v15
	v_fma_f16 v5, -v7, v17, v5
	v_fma_f16 v15, v14, v17, -v15
	v_fma_f16 v16, -v1, v14, v16
	s_delay_alu instid0(VALU_DEP_4) | instskip(NEXT) | instid1(VALU_DEP_4)
	v_fmac_f16_e32 v18, v7, v1
	v_fmac_f16_e32 v5, v1, v14
	s_delay_alu instid0(VALU_DEP_4) | instskip(NEXT) | instid1(VALU_DEP_3)
	v_fmac_f16_e32 v15, v7, v1
	v_pack_b32_f16 v1, v16, v18
	s_delay_alu instid0(VALU_DEP_2)
	v_pack_b32_f16 v5, v5, v15
	s_waitcnt vmcnt(6)
	v_lshrrev_b32_e32 v15, 16, v8
	ds_store_b32 v24, v1 offset:224
	ds_store_b32 v9, v5 offset:3808
	ds_load_b32 v1, v24 offset:448
	ds_load_b32 v5, v9 offset:3584
	s_waitcnt lgkmcnt(1)
	v_lshrrev_b32_e32 v7, 16, v1
	s_waitcnt lgkmcnt(0)
	v_lshrrev_b32_e32 v14, 16, v5
	v_add_f16_e32 v16, v1, v5
	v_sub_f16_e32 v1, v1, v5
	s_delay_alu instid0(VALU_DEP_3) | instskip(SKIP_1) | instid1(VALU_DEP_3)
	v_add_f16_e32 v5, v14, v7
	v_sub_f16_e32 v7, v7, v14
	v_fma_f16 v14, v1, v15, v16
	v_fma_f16 v16, -v1, v15, v16
	s_delay_alu instid0(VALU_DEP_3) | instskip(SKIP_1) | instid1(VALU_DEP_4)
	v_fma_f16 v17, v5, v15, v7
	v_fma_f16 v7, v5, v15, -v7
	v_fma_f16 v14, -v8, v5, v14
	s_delay_alu instid0(VALU_DEP_4) | instskip(NEXT) | instid1(VALU_DEP_4)
	v_fmac_f16_e32 v16, v8, v5
	v_fmac_f16_e32 v17, v1, v8
	s_delay_alu instid0(VALU_DEP_4) | instskip(NEXT) | instid1(VALU_DEP_2)
	v_fmac_f16_e32 v7, v1, v8
	v_pack_b32_f16 v1, v14, v17
	s_delay_alu instid0(VALU_DEP_2)
	v_pack_b32_f16 v5, v16, v7
	ds_store_b32 v24, v1 offset:448
	ds_store_b32 v9, v5 offset:3584
	ds_load_b32 v1, v24 offset:672
	ds_load_b32 v5, v9 offset:3360
	s_waitcnt vmcnt(5)
	v_lshrrev_b32_e32 v14, 16, v10
	s_waitcnt lgkmcnt(1)
	v_lshrrev_b32_e32 v7, 16, v1
	s_waitcnt lgkmcnt(0)
	v_lshrrev_b32_e32 v8, 16, v5
	v_add_f16_e32 v15, v1, v5
	v_sub_f16_e32 v1, v1, v5
	s_delay_alu instid0(VALU_DEP_3) | instskip(SKIP_1) | instid1(VALU_DEP_3)
	v_add_f16_e32 v5, v8, v7
	v_sub_f16_e32 v7, v7, v8
	v_fma_f16 v8, v1, v14, v15
	v_fma_f16 v15, -v1, v14, v15
	s_delay_alu instid0(VALU_DEP_3) | instskip(SKIP_1) | instid1(VALU_DEP_4)
	v_fma_f16 v16, v5, v14, v7
	v_fma_f16 v7, v5, v14, -v7
	v_fma_f16 v8, -v10, v5, v8
	s_delay_alu instid0(VALU_DEP_4) | instskip(NEXT) | instid1(VALU_DEP_4)
	v_fmac_f16_e32 v15, v10, v5
	v_fmac_f16_e32 v16, v1, v10
	s_delay_alu instid0(VALU_DEP_4) | instskip(SKIP_2) | instid1(VALU_DEP_3)
	v_fmac_f16_e32 v7, v1, v10
	s_waitcnt vmcnt(4)
	v_lshrrev_b32_e32 v10, 16, v11
	v_pack_b32_f16 v1, v8, v16
	s_delay_alu instid0(VALU_DEP_3)
	v_pack_b32_f16 v5, v15, v7
	ds_store_b32 v24, v1 offset:672
	ds_store_b32 v9, v5 offset:3360
	ds_load_b32 v1, v24 offset:896
	ds_load_b32 v5, v9 offset:3136
	s_waitcnt lgkmcnt(1)
	v_lshrrev_b32_e32 v7, 16, v1
	s_waitcnt lgkmcnt(0)
	v_lshrrev_b32_e32 v8, 16, v5
	v_add_f16_e32 v14, v1, v5
	v_sub_f16_e32 v1, v1, v5
	s_delay_alu instid0(VALU_DEP_3) | instskip(SKIP_1) | instid1(VALU_DEP_3)
	v_add_f16_e32 v5, v8, v7
	v_sub_f16_e32 v7, v7, v8
	v_fma_f16 v8, v1, v10, v14
	v_fma_f16 v14, -v1, v10, v14
	s_delay_alu instid0(VALU_DEP_3) | instskip(SKIP_1) | instid1(VALU_DEP_4)
	v_fma_f16 v15, v5, v10, v7
	v_fma_f16 v7, v5, v10, -v7
	v_fma_f16 v8, -v11, v5, v8
	s_delay_alu instid0(VALU_DEP_4) | instskip(SKIP_4) | instid1(VALU_DEP_2)
	v_fmac_f16_e32 v14, v11, v5
	s_waitcnt vmcnt(3)
	v_lshrrev_b32_e32 v10, 16, v12
	v_fmac_f16_e32 v15, v1, v11
	v_fmac_f16_e32 v7, v1, v11
	v_pack_b32_f16 v1, v8, v15
	s_delay_alu instid0(VALU_DEP_2)
	v_pack_b32_f16 v5, v14, v7
	ds_store_b32 v24, v1 offset:896
	ds_store_b32 v9, v5 offset:3136
	ds_load_b32 v1, v24 offset:1120
	ds_load_b32 v5, v9 offset:2912
	s_waitcnt lgkmcnt(1)
	v_lshrrev_b32_e32 v7, 16, v1
	s_waitcnt lgkmcnt(0)
	v_lshrrev_b32_e32 v8, 16, v5
	v_add_f16_e32 v11, v1, v5
	v_sub_f16_e32 v1, v1, v5
	s_delay_alu instid0(VALU_DEP_3) | instskip(SKIP_1) | instid1(VALU_DEP_3)
	v_add_f16_e32 v5, v8, v7
	v_sub_f16_e32 v7, v7, v8
	v_fma_f16 v8, v1, v10, v11
	v_fma_f16 v11, -v1, v10, v11
	s_delay_alu instid0(VALU_DEP_3) | instskip(SKIP_1) | instid1(VALU_DEP_4)
	v_fma_f16 v14, v5, v10, v7
	v_fma_f16 v7, v5, v10, -v7
	v_fma_f16 v8, -v12, v5, v8
	s_delay_alu instid0(VALU_DEP_4) | instskip(SKIP_4) | instid1(VALU_DEP_2)
	v_fmac_f16_e32 v11, v12, v5
	s_waitcnt vmcnt(2)
	v_lshrrev_b32_e32 v10, 16, v13
	v_fmac_f16_e32 v14, v1, v12
	v_fmac_f16_e32 v7, v1, v12
	v_pack_b32_f16 v1, v8, v14
	s_delay_alu instid0(VALU_DEP_2)
	v_pack_b32_f16 v5, v11, v7
	ds_store_b32 v24, v1 offset:1120
	ds_store_b32 v9, v5 offset:2912
	ds_load_b32 v1, v24 offset:1344
	ds_load_b32 v5, v9 offset:2688
	s_waitcnt vmcnt(0)
	v_lshrrev_b32_e32 v14, 16, v4
	s_waitcnt lgkmcnt(1)
	v_lshrrev_b32_e32 v7, 16, v1
	s_waitcnt lgkmcnt(0)
	v_lshrrev_b32_e32 v8, 16, v5
	v_add_f16_e32 v11, v1, v5
	v_sub_f16_e32 v1, v1, v5
	s_delay_alu instid0(VALU_DEP_3) | instskip(SKIP_1) | instid1(VALU_DEP_3)
	v_add_f16_e32 v5, v8, v7
	v_sub_f16_e32 v7, v7, v8
	v_fma_f16 v8, v1, v10, v11
	v_fma_f16 v11, -v1, v10, v11
	s_delay_alu instid0(VALU_DEP_3) | instskip(SKIP_1) | instid1(VALU_DEP_4)
	v_fma_f16 v12, v5, v10, v7
	v_fma_f16 v7, v5, v10, -v7
	v_fma_f16 v8, -v13, v5, v8
	s_delay_alu instid0(VALU_DEP_4) | instskip(SKIP_3) | instid1(VALU_DEP_2)
	v_fmac_f16_e32 v11, v13, v5
	v_lshrrev_b32_e32 v10, 16, v6
	v_fmac_f16_e32 v12, v1, v13
	v_fmac_f16_e32 v7, v1, v13
	v_pack_b32_f16 v1, v8, v12
	s_delay_alu instid0(VALU_DEP_2)
	v_pack_b32_f16 v5, v11, v7
	ds_store_b32 v24, v1 offset:1344
	ds_store_b32 v9, v5 offset:2688
	ds_load_b32 v1, v24 offset:1568
	ds_load_b32 v5, v9 offset:2464
	s_waitcnt lgkmcnt(1)
	v_lshrrev_b32_e32 v7, 16, v1
	s_waitcnt lgkmcnt(0)
	v_lshrrev_b32_e32 v8, 16, v5
	v_add_f16_e32 v11, v1, v5
	v_sub_f16_e32 v1, v1, v5
	s_delay_alu instid0(VALU_DEP_3) | instskip(SKIP_1) | instid1(VALU_DEP_3)
	v_add_f16_e32 v5, v8, v7
	v_sub_f16_e32 v7, v7, v8
	v_fma_f16 v8, v1, v10, v11
	v_fma_f16 v11, -v1, v10, v11
	s_delay_alu instid0(VALU_DEP_3) | instskip(SKIP_1) | instid1(VALU_DEP_4)
	v_fma_f16 v12, v5, v10, v7
	v_fma_f16 v7, v5, v10, -v7
	v_fma_f16 v8, -v6, v5, v8
	s_delay_alu instid0(VALU_DEP_4) | instskip(NEXT) | instid1(VALU_DEP_4)
	v_fmac_f16_e32 v11, v6, v5
	v_fmac_f16_e32 v12, v1, v6
	s_delay_alu instid0(VALU_DEP_4) | instskip(SKIP_1) | instid1(VALU_DEP_3)
	v_fmac_f16_e32 v7, v1, v6
	v_add_nc_u32_e32 v6, 0xa8, v0
	v_pack_b32_f16 v1, v8, v12
	s_delay_alu instid0(VALU_DEP_3)
	v_pack_b32_f16 v5, v11, v7
	ds_store_b32 v24, v1 offset:1568
	ds_store_b32 v9, v5 offset:2464
	ds_load_b32 v10, v24 offset:1792
	ds_load_b32 v11, v9 offset:2240
	v_add_nc_u32_e32 v5, 56, v0
	v_add_nc_u32_e32 v1, 0x70, v0
	;; [unrolled: 1-line block ×4, first 2 shown]
	v_lshl_add_u32 v38, v6, 3, 0
	v_lshl_add_u32 v36, v5, 3, 0
	;; [unrolled: 1-line block ×5, first 2 shown]
	s_waitcnt lgkmcnt(1)
	v_lshrrev_b32_e32 v12, 16, v10
	s_waitcnt lgkmcnt(0)
	v_lshrrev_b32_e32 v13, 16, v11
	v_add_f16_e32 v15, v10, v11
	v_sub_f16_e32 v10, v10, v11
	s_delay_alu instid0(VALU_DEP_3) | instskip(SKIP_1) | instid1(VALU_DEP_3)
	v_add_f16_e32 v11, v13, v12
	v_sub_f16_e32 v12, v12, v13
	v_fma_f16 v13, v10, v14, v15
	v_fma_f16 v15, -v10, v14, v15
	s_delay_alu instid0(VALU_DEP_3) | instskip(SKIP_1) | instid1(VALU_DEP_4)
	v_fma_f16 v16, v11, v14, v12
	v_fma_f16 v12, v11, v14, -v12
	v_fma_f16 v13, -v4, v11, v13
	s_delay_alu instid0(VALU_DEP_4) | instskip(NEXT) | instid1(VALU_DEP_4)
	v_fmac_f16_e32 v15, v4, v11
	v_fmac_f16_e32 v16, v10, v4
	s_delay_alu instid0(VALU_DEP_4) | instskip(SKIP_1) | instid1(VALU_DEP_3)
	v_fmac_f16_e32 v12, v10, v4
	v_add_nc_u32_e32 v4, 0x200, v24
	v_pack_b32_f16 v10, v13, v16
	s_delay_alu instid0(VALU_DEP_3)
	v_pack_b32_f16 v11, v15, v12
	ds_store_b32 v24, v10 offset:1792
	ds_store_b32 v9, v11 offset:2240
	s_waitcnt lgkmcnt(0)
	s_barrier
	buffer_gl0_inv
	s_barrier
	buffer_gl0_inv
	ds_load_2addr_b32 v[9:10], v24 offset1:56
	ds_load_2addr_b32 v[11:12], v25 offset0:192 offset1:248
	ds_load_2addr_b32 v[13:14], v26 offset0:48 offset1:104
	;; [unrolled: 1-line block ×8, first 2 shown]
	s_waitcnt lgkmcnt(0)
	s_barrier
	buffer_gl0_inv
	v_pk_add_f16 v12, v9, v12 neg_lo:[0,1] neg_hi:[0,1]
	v_pk_add_f16 v13, v10, v13 neg_lo:[0,1] neg_hi:[0,1]
	;; [unrolled: 1-line block ×9, first 2 shown]
	v_pk_fma_f16 v9, v9, 2.0, v12 op_sel_hi:[1,0,1] neg_lo:[0,0,1] neg_hi:[0,0,1]
	v_pk_fma_f16 v10, v10, 2.0, v13 op_sel_hi:[1,0,1] neg_lo:[0,0,1] neg_hi:[0,0,1]
	;; [unrolled: 1-line block ×9, first 2 shown]
	ds_store_2addr_b32 v34, v9, v12 offset1:1
	ds_store_2addr_b32 v36, v10, v13 offset1:1
	;; [unrolled: 1-line block ×9, first 2 shown]
	s_waitcnt lgkmcnt(0)
	s_barrier
	buffer_gl0_inv
	global_load_b32 v34, v44, s[4:5]
	v_lshlrev_b32_e32 v36, 1, v0
	v_lshlrev_b32_e32 v38, 1, v5
	;; [unrolled: 1-line block ×5, first 2 shown]
	v_and_or_b32 v9, 0x7c, v36, v35
	v_lshlrev_b32_e32 v42, 1, v8
	v_and_or_b32 v11, 0x1fc, v39, v35
	v_and_or_b32 v15, 0x1fc, v40, v35
	;; [unrolled: 1-line block ×3, first 2 shown]
	v_lshl_add_u32 v44, v9, 2, 0
	v_and_or_b32 v9, 0xfc, v38, v35
	v_and_or_b32 v19, 0x2fc, v42, v35
	;; [unrolled: 1-line block ×5, first 2 shown]
	v_lshl_add_u32 v35, v9, 2, 0
	ds_load_u16 v45, v24 offset:3362
	ds_load_2addr_b32 v[9:10], v27 offset0:128 offset1:184
	v_lshl_add_u32 v46, v11, 2, 0
	ds_load_2addr_b32 v[11:12], v27 offset0:16 offset1:72
	ds_load_2addr_b32 v[13:14], v26 offset0:160 offset1:216
	v_lshl_add_u32 v47, v15, 2, 0
	ds_load_2addr_b32 v[15:16], v26 offset0:48 offset1:104
	v_lshl_add_u32 v48, v17, 2, 0
	;; [unrolled: 2-line block ×3, first 2 shown]
	v_lshl_add_u32 v50, v20, 2, 0
	v_lshl_add_u32 v51, v21, 2, 0
	;; [unrolled: 1-line block ×3, first 2 shown]
	ds_load_2addr_b32 v[19:20], v24 offset1:56
	ds_load_2addr_b32 v[21:22], v24 offset0:112 offset1:168
	ds_load_2addr_b32 v[28:29], v4 offset0:96 offset1:152
	;; [unrolled: 1-line block ×3, first 2 shown]
	v_and_b32_e32 v37, 3, v0
	s_waitcnt vmcnt(0) lgkmcnt(0)
	s_barrier
	buffer_gl0_inv
	v_lshlrev_b32_e32 v43, 2, v37
	v_pk_mul_f16 v45, v45, v34 op_sel_hi:[0,1]
	v_pk_mul_f16 v53, v10, v34 op_sel:[0,1]
	v_pk_mul_f16 v54, v9, v34 op_sel:[0,1]
	;; [unrolled: 1-line block ×8, first 2 shown]
	v_pk_fma_f16 v61, v34, v12, v45 op_sel:[0,0,1] op_sel_hi:[1,1,0] neg_lo:[0,0,1] neg_hi:[0,0,1]
	v_pk_fma_f16 v12, v34, v12, v45 op_sel:[0,0,1] op_sel_hi:[1,0,0]
	v_pk_fma_f16 v45, v10, v34, v53 op_sel:[0,0,1] op_sel_hi:[1,1,0] neg_lo:[0,0,1] neg_hi:[0,0,1]
	v_pk_fma_f16 v10, v10, v34, v53 op_sel:[0,0,1] op_sel_hi:[1,0,0]
	;; [unrolled: 2-line block ×9, first 2 shown]
	v_bfi_b32 v16, 0xffff, v57, v16
	v_bfi_b32 v13, 0xffff, v56, v13
	;; [unrolled: 1-line block ×9, first 2 shown]
	v_pk_add_f16 v18, v19, v18 neg_lo:[0,1] neg_hi:[0,1]
	v_pk_add_f16 v15, v20, v15 neg_lo:[0,1] neg_hi:[0,1]
	;; [unrolled: 1-line block ×9, first 2 shown]
	v_pk_fma_f16 v19, v19, 2.0, v18 op_sel_hi:[1,0,1] neg_lo:[0,0,1] neg_hi:[0,0,1]
	v_pk_fma_f16 v20, v20, 2.0, v15 op_sel_hi:[1,0,1] neg_lo:[0,0,1] neg_hi:[0,0,1]
	;; [unrolled: 1-line block ×9, first 2 shown]
	ds_store_2addr_b32 v44, v19, v18 offset1:2
	ds_store_2addr_b32 v35, v20, v15 offset1:2
	;; [unrolled: 1-line block ×9, first 2 shown]
	s_waitcnt lgkmcnt(0)
	s_barrier
	buffer_gl0_inv
	global_load_b32 v34, v43, s[4:5] offset:8
	v_and_or_b32 v9, 0x78, v36, v37
	v_and_or_b32 v13, 0xf8, v38, v37
	;; [unrolled: 1-line block ×5, first 2 shown]
	v_lshl_add_u32 v44, v9, 2, 0
	v_and_or_b32 v19, 0x2f8, v42, v37
	v_and_or_b32 v20, 0x3f8, v23, v37
	;; [unrolled: 1-line block ×4, first 2 shown]
	ds_load_2addr_b32 v[9:10], v27 offset0:16 offset1:72
	ds_load_2addr_b32 v[11:12], v27 offset0:128 offset1:184
	v_lshl_add_u32 v37, v13, 2, 0
	v_lshl_add_u32 v45, v14, 2, 0
	ds_load_2addr_b32 v[13:14], v26 offset0:160 offset1:216
	v_lshl_add_u32 v46, v15, 2, 0
	ds_load_2addr_b32 v[15:16], v26 offset0:48 offset1:104
	;; [unrolled: 2-line block ×3, first 2 shown]
	v_lshl_add_u32 v48, v19, 2, 0
	v_lshl_add_u32 v49, v20, 2, 0
	;; [unrolled: 1-line block ×4, first 2 shown]
	ds_load_2addr_b32 v[19:20], v24 offset1:56
	ds_load_2addr_b32 v[21:22], v24 offset0:112 offset1:168
	ds_load_2addr_b32 v[28:29], v4 offset0:96 offset1:152
	;; [unrolled: 1-line block ×3, first 2 shown]
	v_and_b32_e32 v35, 7, v0
	s_waitcnt vmcnt(0) lgkmcnt(0)
	s_barrier
	buffer_gl0_inv
	v_lshlrev_b32_e32 v43, 2, v35
	v_pk_mul_f16 v52, v34, v10 op_sel:[0,1]
	v_pk_mul_f16 v53, v12, v34 op_sel:[0,1]
	;; [unrolled: 1-line block ×9, first 2 shown]
	v_pk_fma_f16 v61, v34, v10, v52 op_sel:[0,0,1] op_sel_hi:[1,1,0] neg_lo:[0,0,1] neg_hi:[0,0,1]
	v_pk_fma_f16 v10, v34, v10, v52 op_sel:[0,0,1] op_sel_hi:[1,0,0]
	v_pk_fma_f16 v52, v12, v34, v53 op_sel:[0,0,1] op_sel_hi:[1,1,0] neg_lo:[0,0,1] neg_hi:[0,0,1]
	v_pk_fma_f16 v12, v12, v34, v53 op_sel:[0,0,1] op_sel_hi:[1,0,0]
	;; [unrolled: 2-line block ×9, first 2 shown]
	v_bfi_b32 v16, 0xffff, v57, v16
	v_bfi_b32 v13, 0xffff, v56, v13
	;; [unrolled: 1-line block ×9, first 2 shown]
	v_pk_add_f16 v18, v19, v18 neg_lo:[0,1] neg_hi:[0,1]
	v_pk_add_f16 v15, v20, v15 neg_lo:[0,1] neg_hi:[0,1]
	;; [unrolled: 1-line block ×9, first 2 shown]
	v_pk_fma_f16 v19, v19, 2.0, v18 op_sel_hi:[1,0,1] neg_lo:[0,0,1] neg_hi:[0,0,1]
	v_pk_fma_f16 v20, v20, 2.0, v15 op_sel_hi:[1,0,1] neg_lo:[0,0,1] neg_hi:[0,0,1]
	;; [unrolled: 1-line block ×9, first 2 shown]
	ds_store_2addr_b32 v44, v19, v18 offset1:4
	ds_store_2addr_b32 v37, v20, v15 offset1:4
	;; [unrolled: 1-line block ×9, first 2 shown]
	s_waitcnt lgkmcnt(0)
	s_barrier
	buffer_gl0_inv
	global_load_b32 v34, v43, s[4:5] offset:24
	v_and_or_b32 v10, 0x70, v36, v35
	v_and_or_b32 v14, 0xf0, v38, v35
	;; [unrolled: 1-line block ×5, first 2 shown]
	v_lshl_add_u32 v44, v10, 2, 0
	v_and_or_b32 v20, 0x2f0, v42, v35
	v_and_or_b32 v21, 0x3f0, v23, v35
	;; [unrolled: 1-line block ×4, first 2 shown]
	ds_load_2addr_b32 v[10:11], v27 offset0:16 offset1:72
	ds_load_2addr_b32 v[12:13], v27 offset0:128 offset1:184
	v_lshl_add_u32 v35, v14, 2, 0
	v_lshl_add_u32 v38, v15, 2, 0
	ds_load_2addr_b32 v[14:15], v26 offset0:160 offset1:216
	v_lshl_add_u32 v39, v16, 2, 0
	ds_load_2addr_b32 v[16:17], v26 offset0:48 offset1:104
	;; [unrolled: 2-line block ×3, first 2 shown]
	v_lshl_add_u32 v41, v20, 2, 0
	v_lshl_add_u32 v42, v21, 2, 0
	;; [unrolled: 1-line block ×4, first 2 shown]
	ds_load_2addr_b32 v[20:21], v24 offset1:56
	ds_load_2addr_b32 v[22:23], v24 offset0:112 offset1:168
	ds_load_2addr_b32 v[28:29], v4 offset0:96 offset1:152
	;; [unrolled: 1-line block ×3, first 2 shown]
	v_and_b32_e32 v9, 15, v0
	v_and_b32_e32 v37, 15, v8
	s_waitcnt vmcnt(0) lgkmcnt(0)
	s_barrier
	buffer_gl0_inv
	v_lshlrev_b32_e32 v36, 3, v9
	v_lshlrev_b32_e32 v32, 3, v37
	v_pk_mul_f16 v47, v34, v11 op_sel:[0,1]
	v_pk_mul_f16 v48, v13, v34 op_sel:[0,1]
	;; [unrolled: 1-line block ×9, first 2 shown]
	v_pk_fma_f16 v56, v34, v11, v47 op_sel:[0,0,1] op_sel_hi:[1,1,0] neg_lo:[0,0,1] neg_hi:[0,0,1]
	v_pk_fma_f16 v11, v34, v11, v47 op_sel:[0,0,1] op_sel_hi:[1,0,0]
	v_pk_fma_f16 v47, v13, v34, v48 op_sel:[0,0,1] op_sel_hi:[1,1,0] neg_lo:[0,0,1] neg_hi:[0,0,1]
	v_pk_fma_f16 v13, v13, v34, v48 op_sel:[0,0,1] op_sel_hi:[1,0,0]
	v_pk_fma_f16 v48, v12, v34, v49 op_sel:[0,0,1] op_sel_hi:[1,1,0] neg_lo:[0,0,1] neg_hi:[0,0,1]
	v_pk_fma_f16 v12, v12, v34, v49 op_sel:[0,0,1] op_sel_hi:[1,0,0]
	v_pk_fma_f16 v49, v34, v10, v50 op_sel:[0,0,1] op_sel_hi:[1,1,0] neg_lo:[0,0,1] neg_hi:[0,0,1]
	v_pk_fma_f16 v10, v34, v10, v50 op_sel:[0,0,1] op_sel_hi:[1,0,0]
	v_pk_fma_f16 v50, v34, v15, v51 op_sel:[0,0,1] op_sel_hi:[1,1,0] neg_lo:[0,0,1] neg_hi:[0,0,1]
	v_pk_fma_f16 v15, v34, v15, v51 op_sel:[0,0,1] op_sel_hi:[1,0,0]
	v_pk_fma_f16 v51, v34, v14, v52 op_sel:[0,0,1] op_sel_hi:[1,1,0] neg_lo:[0,0,1] neg_hi:[0,0,1]
	v_pk_fma_f16 v14, v34, v14, v52 op_sel:[0,0,1] op_sel_hi:[1,0,0]
	v_pk_fma_f16 v52, v34, v17, v53 op_sel:[0,0,1] op_sel_hi:[1,1,0] neg_lo:[0,0,1] neg_hi:[0,0,1]
	v_pk_fma_f16 v17, v34, v17, v53 op_sel:[0,0,1] op_sel_hi:[1,0,0]
	v_pk_fma_f16 v53, v34, v16, v54 op_sel:[0,0,1] op_sel_hi:[1,1,0] neg_lo:[0,0,1] neg_hi:[0,0,1]
	v_pk_fma_f16 v16, v34, v16, v54 op_sel:[0,0,1] op_sel_hi:[1,0,0]
	v_pk_fma_f16 v54, v34, v19, v55 op_sel:[0,0,1] op_sel_hi:[1,1,0] neg_lo:[0,0,1] neg_hi:[0,0,1]
	v_pk_fma_f16 v19, v34, v19, v55 op_sel:[0,0,1] op_sel_hi:[1,0,0]
	v_bfi_b32 v17, 0xffff, v52, v17
	v_bfi_b32 v14, 0xffff, v51, v14
	;; [unrolled: 1-line block ×9, first 2 shown]
	v_pk_add_f16 v19, v20, v19 neg_lo:[0,1] neg_hi:[0,1]
	v_pk_add_f16 v16, v21, v16 neg_lo:[0,1] neg_hi:[0,1]
	;; [unrolled: 1-line block ×9, first 2 shown]
	v_pk_fma_f16 v20, v20, 2.0, v19 op_sel_hi:[1,0,1] neg_lo:[0,0,1] neg_hi:[0,0,1]
	v_pk_fma_f16 v21, v21, 2.0, v16 op_sel_hi:[1,0,1] neg_lo:[0,0,1] neg_hi:[0,0,1]
	v_pk_fma_f16 v22, v22, 2.0, v17 op_sel_hi:[1,0,1] neg_lo:[0,0,1] neg_hi:[0,0,1]
	v_pk_fma_f16 v23, v23, 2.0, v14 op_sel_hi:[1,0,1] neg_lo:[0,0,1] neg_hi:[0,0,1]
	v_pk_fma_f16 v28, v28, 2.0, v15 op_sel_hi:[1,0,1] neg_lo:[0,0,1] neg_hi:[0,0,1]
	v_pk_fma_f16 v30, v30, 2.0, v11 op_sel_hi:[1,0,1] neg_lo:[0,0,1] neg_hi:[0,0,1]
	v_pk_fma_f16 v18, v18, 2.0, v13 op_sel_hi:[1,0,1] neg_lo:[0,0,1] neg_hi:[0,0,1]
	v_pk_fma_f16 v31, v31, 2.0, v12 op_sel_hi:[1,0,1] neg_lo:[0,0,1] neg_hi:[0,0,1]
	v_pk_fma_f16 v29, v29, 2.0, v10 op_sel_hi:[1,0,1] neg_lo:[0,0,1] neg_hi:[0,0,1]
	ds_store_2addr_b32 v44, v20, v19 offset1:8
	ds_store_2addr_b32 v35, v21, v16 offset1:8
	;; [unrolled: 1-line block ×9, first 2 shown]
	v_mov_b32_e32 v13, 0
	v_and_b32_e32 v43, 15, v6
	v_and_b32_e32 v14, 15, v5
	s_waitcnt lgkmcnt(0)
	s_barrier
	buffer_gl0_inv
	v_lshlrev_b32_e32 v33, 3, v43
	s_clause 0x8
	global_load_b64 v[10:11], v36, s[4:5] offset:56
	global_load_b32 v34, v32, s[4:5] offset:56
	global_load_b32 v35, v32, s[4:5] offset:58
	;; [unrolled: 1-line block ×3, first 2 shown]
	global_load_u16 v38, v33, s[4:5] offset:58
	global_load_u16 v39, v33, s[4:5] offset:62
	;; [unrolled: 1-line block ×5, first 2 shown]
	v_lshlrev_b32_e32 v12, 3, v14
	v_subrev_nc_u32_e32 v15, 48, v0
	v_lshrrev_b32_e32 v16, 4, v5
	v_lshrrev_b32_e32 v17, 4, v1
	;; [unrolled: 1-line block ×3, first 2 shown]
	global_load_u16 v41, v12, s[4:5] offset:56
	v_lshrrev_b32_e32 v20, 4, v8
	v_cndmask_b32_e64 v42, v15, v0, s0
	v_and_b32_e32 v15, 0xff, v5
	v_and_b32_e32 v21, 0xff, v1
	;; [unrolled: 1-line block ×5, first 2 shown]
	v_mul_u32_u24_e32 v16, 48, v16
	v_mul_u32_u24_e32 v17, 48, v17
	;; [unrolled: 1-line block ×4, first 2 shown]
	v_mul_lo_u16 v15, 0xab, v15
	v_lshrrev_b32_e32 v12, 4, v0
	v_mul_lo_u16 v21, 0xab, v21
	v_mul_lo_u16 v22, 0xab, v22
	v_mul_u32_u24_e32 v23, 0xaaab, v23
	v_mul_u32_u24_e32 v28, 0xaaab, v28
	v_or_b32_e32 v14, v16, v14
	v_or_b32_e32 v16, v17, v9
	;; [unrolled: 1-line block ×4, first 2 shown]
	v_lshrrev_b16 v37, 13, v15
	v_mul_u32_u24_e32 v12, 48, v12
	v_lshrrev_b32_e32 v19, 4, v7
	v_lshrrev_b16 v43, 13, v21
	v_lshrrev_b16 v45, 13, v22
	v_lshrrev_b32_e32 v46, 21, v23
	v_lshrrev_b32_e32 v47, 21, v28
	v_lshl_add_u32 v48, v14, 2, 0
	v_mul_lo_u16 v14, v37, 48
	v_or_b32_e32 v29, v12, v9
	v_mul_u32_u24_e32 v19, 48, v19
	v_lshl_add_u32 v49, v16, 2, 0
	v_lshl_add_u32 v50, v17, 2, 0
	;; [unrolled: 1-line block ×3, first 2 shown]
	v_mul_lo_u16 v15, v43, 48
	v_mul_lo_u16 v16, v45, 48
	;; [unrolled: 1-line block ×4, first 2 shown]
	v_sub_nc_u16 v14, v5, v14
	v_lshl_add_u32 v44, v29, 2, 0
	v_or_b32_e32 v9, v19, v9
	v_sub_nc_u16 v19, v1, v15
	v_sub_nc_u16 v20, v6, v16
	;; [unrolled: 1-line block ×4, first 2 shown]
	ds_load_2addr_b32 v[5:6], v24 offset1:56
	v_and_b32_e32 v52, 0xff, v14
	ds_load_2addr_b32 v[7:8], v24 offset0:112 offset1:168
	ds_load_2addr_b32 v[14:15], v27 offset0:16 offset1:72
	;; [unrolled: 1-line block ×3, first 2 shown]
	v_and_b32_e32 v53, 0xff, v19
	v_and_b32_e32 v54, 0xff, v20
	ds_load_2addr_b32 v[18:19], v4 offset0:96 offset1:152
	ds_load_2addr_b32 v[20:21], v26 offset0:48 offset1:104
	;; [unrolled: 1-line block ×3, first 2 shown]
	v_and_b32_e32 v55, 0xffff, v28
	v_and_b32_e32 v56, 0xffff, v29
	ds_load_2addr_b32 v[28:29], v25 offset0:80 offset1:136
	ds_load_2addr_b32 v[30:31], v26 offset0:160 offset1:216
	ds_load_u16 v59, v24 offset:1794
	v_lshlrev_b32_e32 v12, 1, v42
	v_lshlrev_b32_e32 v57, 3, v52
	;; [unrolled: 1-line block ×3, first 2 shown]
	v_lshl_add_u32 v9, v9, 2, 0
	s_waitcnt vmcnt(0) lgkmcnt(0)
	v_lshlrev_b64 v[12:13], 2, v[12:13]
	s_barrier
	buffer_gl0_inv
	v_lshrrev_b32_e32 v61, 16, v6
	v_lshrrev_b32_e32 v64, 16, v8
	;; [unrolled: 1-line block ×17, first 2 shown]
	v_add_co_u32 v12, s0, s4, v12
	s_delay_alu instid0(VALU_DEP_1)
	v_add_co_ci_u32_e64 v13, s0, s5, v13, s0
	v_cmp_lt_u32_e64 s0, 47, v0
	v_lshrrev_b32_e32 v77, 16, v10
	v_lshrrev_b32_e32 v78, 16, v11
	;; [unrolled: 1-line block ×4, first 2 shown]
	v_mul_f16_e32 v82, v65, v38
	v_mul_f16_e32 v38, v17, v38
	;; [unrolled: 1-line block ×4, first 2 shown]
	v_lshrrev_b32_e32 v80, 16, v35
	v_mul_f16_e32 v84, v71, v35
	v_mul_f16_e32 v35, v21, v35
	v_mul_f16_e32 v85, v72, v32
	v_mul_f16_e32 v32, v23, v32
	v_mul_f16_e32 v86, v77, v73
	v_mul_f16_e32 v87, v77, v28
	v_mul_f16_e32 v88, v78, v74
	v_mul_f16_e32 v89, v78, v30
	v_mul_f16_e32 v90, v79, v75
	v_mul_f16_e32 v79, v79, v29
	v_mul_f16_e32 v91, v81, v76
	v_mul_f16_e32 v81, v81, v31
	v_mul_f16_e32 v92, v59, v77
	v_fmac_f16_e32 v38, v65, v40
	v_mul_f16_e32 v65, v77, v16
	v_fma_f16 v17, v17, v40, -v82
	v_mul_f16_e32 v40, v63, v78
	v_fmac_f16_e32 v39, v66, v33
	v_mul_f16_e32 v66, v14, v78
	v_fma_f16 v15, v15, v33, -v83
	v_mul_f16_e32 v33, v68, v77
	v_mul_f16_e32 v77, v20, v77
	v_fmac_f16_e32 v35, v71, v34
	v_mul_f16_e32 v71, v69, v78
	v_mul_f16_e32 v78, v22, v78
	v_fma_f16 v21, v21, v34, -v84
	v_fmac_f16_e32 v32, v72, v36
	v_fma_f16 v28, v10, v28, -v86
	v_fmac_f16_e32 v87, v10, v73
	;; [unrolled: 2-line block ×3, first 2 shown]
	v_fma_f16 v23, v23, v36, -v85
	v_fma_f16 v29, v41, v29, -v90
	v_fmac_f16_e32 v79, v41, v75
	v_fma_f16 v31, v80, v31, -v91
	v_fmac_f16_e32 v81, v80, v76
	;; [unrolled: 2-line block ×6, first 2 shown]
	v_add_f16_e32 v11, v8, v17
	v_add_f16_e32 v22, v17, v15
	v_sub_f16_e32 v33, v38, v39
	v_add_f16_e32 v34, v64, v38
	v_add_f16_e32 v36, v38, v39
	v_add_f16_e32 v38, v19, v21
	v_sub_f16_e32 v41, v35, v32
	v_add_f16_e32 v59, v70, v35
	v_add_f16_e32 v35, v35, v32
	v_add_f16_e32 v68, v28, v30
	v_add_f16_e32 v72, v87, v89
	v_add_f16_e32 v40, v21, v23
	v_add_f16_e32 v74, v29, v31
	v_sub_f16_e32 v75, v79, v81
	v_add_f16_e32 v76, v61, v79
	v_add_f16_e32 v79, v79, v81
	;; [unrolled: 1-line block ×3, first 2 shown]
	v_sub_f16_e32 v83, v65, v66
	v_add_f16_e32 v84, v62, v65
	v_add_f16_e32 v65, v65, v66
	v_sub_f16_e32 v17, v17, v15
	v_sub_f16_e32 v21, v21, v23
	v_add_f16_e32 v63, v5, v28
	v_sub_f16_e32 v69, v87, v89
	v_add_f16_e32 v71, v60, v87
	;; [unrolled: 2-line block ×3, first 2 shown]
	v_fmac_f16_e32 v8, -0.5, v22
	v_add_f16_e32 v15, v34, v39
	v_fmac_f16_e32 v64, -0.5, v36
	v_add_f16_e32 v34, v20, v10
	v_sub_f16_e32 v36, v77, v78
	v_add_f16_e32 v39, v67, v77
	v_add_f16_e32 v77, v77, v78
	;; [unrolled: 1-line block ×4, first 2 shown]
	v_fmac_f16_e32 v70, -0.5, v35
	v_fma_f16 v5, -0.5, v68, v5
	v_fmac_f16_e32 v60, -0.5, v72
	v_add_f16_e32 v73, v6, v29
	v_sub_f16_e32 v29, v29, v31
	v_add_f16_e32 v22, v18, v20
	v_fmac_f16_e32 v19, -0.5, v40
	v_fmac_f16_e32 v6, -0.5, v74
	;; [unrolled: 1-line block ×3, first 2 shown]
	v_add_f16_e32 v80, v7, v16
	v_sub_f16_e32 v16, v16, v14
	v_fma_f16 v7, -0.5, v82, v7
	v_fmac_f16_e32 v62, -0.5, v65
	v_sub_f16_e32 v20, v20, v10
	v_add_f16_e32 v30, v63, v30
	v_add_f16_e32 v35, v71, v89
	v_fmamk_f16 v59, v33, 0x3aee, v8
	v_fmac_f16_e32 v8, 0xbaee, v33
	v_fmamk_f16 v33, v17, 0xbaee, v64
	v_fmac_f16_e32 v64, 0x3aee, v17
	v_fma_f16 v17, -0.5, v34, v18
	v_fmac_f16_e32 v67, -0.5, v77
	v_fmamk_f16 v34, v21, 0xbaee, v70
	v_fmac_f16_e32 v70, 0x3aee, v21
	v_pack_b32_f16 v11, v11, v15
	v_pack_b32_f16 v15, v23, v32
	v_fmamk_f16 v21, v69, 0x3aee, v5
	v_fmamk_f16 v23, v28, 0xbaee, v60
	v_fmac_f16_e32 v5, 0xbaee, v69
	v_fmac_f16_e32 v60, 0x3aee, v28
	v_add_f16_e32 v31, v73, v31
	v_add_f16_e32 v38, v76, v81
	;; [unrolled: 1-line block ×4, first 2 shown]
	v_fmamk_f16 v22, v41, 0x3aee, v19
	v_fmamk_f16 v28, v75, 0x3aee, v6
	v_fmamk_f16 v32, v29, 0xbaee, v61
	v_fmac_f16_e32 v6, 0xbaee, v75
	v_fmac_f16_e32 v61, 0x3aee, v29
	v_add_f16_e32 v14, v80, v14
	v_add_f16_e32 v40, v84, v66
	v_fmamk_f16 v29, v83, 0x3aee, v7
	v_fmac_f16_e32 v7, 0xbaee, v83
	v_fmamk_f16 v39, v16, 0xbaee, v62
	v_fmac_f16_e32 v62, 0x3aee, v16
	v_fmac_f16_e32 v19, 0xbaee, v41
	v_fmamk_f16 v16, v36, 0x3aee, v17
	v_fmac_f16_e32 v17, 0xbaee, v36
	v_fmamk_f16 v36, v20, 0xbaee, v67
	v_fmac_f16_e32 v67, 0x3aee, v20
	v_pack_b32_f16 v20, v30, v35
	v_pack_b32_f16 v21, v21, v23
	;; [unrolled: 1-line block ×16, first 2 shown]
	ds_store_2addr_b32 v44, v20, v21 offset1:16
	ds_store_b32 v44, v5 offset:128
	ds_store_2addr_b32 v48, v30, v22 offset1:16
	ds_store_b32 v48, v6 offset:128
	;; [unrolled: 2-line block ×6, first 2 shown]
	s_waitcnt lgkmcnt(0)
	s_barrier
	buffer_gl0_inv
	s_clause 0x1
	global_load_b64 v[6:7], v[12:13], off offset:184
	global_load_b64 v[10:11], v58, s[4:5] offset:184
	v_lshlrev_b32_e32 v5, 3, v54
	v_lshlrev_b32_e32 v14, 3, v55
	global_load_b64 v[8:9], v57, s[4:5] offset:184
	v_lshlrev_b32_e32 v16, 3, v56
	s_clause 0x2
	global_load_b64 v[12:13], v5, s[4:5] offset:184
	global_load_b64 v[14:15], v14, s[4:5] offset:184
	;; [unrolled: 1-line block ×3, first 2 shown]
	v_cndmask_b32_e64 v5, 0, 0x240, s0
	v_lshlrev_b32_e32 v18, 2, v42
	v_and_b32_e32 v19, 0xffff, v45
	v_lshlrev_b32_e32 v33, 2, v52
	v_lshlrev_b32_e32 v39, 2, v53
	;; [unrolled: 1-line block ×3, first 2 shown]
	v_add3_u32 v41, 0, v5, v18
	v_and_b32_e32 v5, 0xffff, v37
	v_and_b32_e32 v18, 0xffff, v43
	v_mul_u32_u24_e32 v38, 0x240, v19
	v_mul_u32_u24_e32 v28, 0x240, v46
	v_lshlrev_b32_e32 v42, 2, v55
	v_mul_u32_u24_e32 v5, 0x240, v5
	v_mul_u32_u24_e32 v37, 0x240, v18
	ds_load_2addr_b32 v[18:19], v24 offset1:56
	ds_load_2addr_b32 v[20:21], v24 offset0:112 offset1:168
	ds_load_2addr_b32 v[22:23], v25 offset0:192 offset1:248
	;; [unrolled: 1-line block ×3, first 2 shown]
	v_add3_u32 v46, 0, v38, v40
	v_add3_u32 v44, 0, v5, v33
	ds_load_2addr_b32 v[4:5], v4 offset0:96 offset1:152
	ds_load_2addr_b32 v[33:34], v26 offset0:48 offset1:104
	;; [unrolled: 1-line block ×3, first 2 shown]
	v_add3_u32 v45, 0, v37, v39
	ds_load_2addr_b32 v[37:38], v25 offset0:80 offset1:136
	ds_load_2addr_b32 v[39:40], v26 offset0:160 offset1:216
	v_lshlrev_b32_e32 v43, 2, v56
	v_mul_u32_u24_e32 v29, 0x240, v47
	v_add3_u32 v42, 0, v28, v42
	v_add_nc_u32_e32 v30, 0xa00, v24
	s_waitcnt vmcnt(0) lgkmcnt(0)
	s_barrier
	v_add3_u32 v43, 0, v29, v43
	buffer_gl0_inv
	v_cmp_gt_u32_e64 s0, 32, v0
	v_lshrrev_b32_e32 v49, 16, v20
	v_lshrrev_b32_e32 v50, 16, v22
	;; [unrolled: 1-line block ×30, first 2 shown]
	v_mul_f16_e32 v75, v63, v59
	v_mul_f16_e32 v63, v63, v37
	v_mul_f16_e32 v76, v64, v60
	v_mul_f16_e32 v64, v64, v39
	v_mul_f16_e32 v77, v65, v61
	v_mul_f16_e32 v65, v65, v38
	v_mul_f16_e32 v78, v66, v62
	v_mul_f16_e32 v66, v66, v40
	v_mul_f16_e32 v79, v50, v67
	v_mul_f16_e32 v67, v22, v67
	v_mul_f16_e32 v80, v51, v68
	v_mul_f16_e32 v68, v31, v68
	v_mul_f16_e32 v81, v53, v69
	v_mul_f16_e32 v69, v23, v69
	v_mul_f16_e32 v82, v54, v70
	v_mul_f16_e32 v70, v32, v70
	v_mul_f16_e32 v83, v55, v71
	v_mul_f16_e32 v71, v33, v71
	v_mul_f16_e32 v84, v56, v72
	v_mul_f16_e32 v72, v35, v72
	v_mul_f16_e32 v85, v57, v73
	v_mul_f16_e32 v73, v34, v73
	v_mul_f16_e32 v86, v58, v74
	v_mul_f16_e32 v74, v36, v74
	v_fma_f16 v37, v6, v37, -v75
	v_fmac_f16_e32 v63, v6, v59
	v_fma_f16 v6, v7, v39, -v76
	v_fmac_f16_e32 v64, v7, v60
	;; [unrolled: 2-line block ×12, first 2 shown]
	v_add_f16_e32 v22, v37, v6
	v_add_f16_e32 v32, v63, v64
	;; [unrolled: 1-line block ×5, first 2 shown]
	v_sub_f16_e32 v23, v63, v64
	v_add_f16_e32 v31, v47, v63
	v_add_f16_e32 v40, v9, v10
	v_add_f16_e32 v53, v67, v68
	v_add_f16_e32 v55, v11, v12
	v_add_f16_e32 v58, v69, v70
	v_add_f16_e32 v60, v13, v14
	v_add_f16_e32 v63, v71, v72
	v_sub_f16_e32 v33, v37, v6
	v_add_f16_e32 v34, v19, v7
	v_sub_f16_e32 v36, v65, v66
	v_add_f16_e32 v37, v48, v65
	;; [unrolled: 2-line block ×6, first 2 shown]
	v_add_f16_e32 v65, v5, v15
	v_add_f16_e32 v67, v15, v16
	v_sub_f16_e32 v69, v73, v74
	v_add_f16_e32 v71, v29, v73
	v_add_f16_e32 v73, v73, v74
	v_fma_f16 v18, -0.5, v22, v18
	v_fmac_f16_e32 v47, -0.5, v32
	v_fmac_f16_e32 v19, -0.5, v35
	;; [unrolled: 1-line block ×3, first 2 shown]
	v_sub_f16_e32 v9, v9, v10
	v_add_f16_e32 v54, v21, v11
	v_sub_f16_e32 v11, v11, v12
	v_add_f16_e32 v59, v4, v13
	;; [unrolled: 2-line block ×3, first 2 shown]
	v_fma_f16 v20, -0.5, v40, v20
	v_fmac_f16_e32 v49, -0.5, v53
	v_fmac_f16_e32 v21, -0.5, v55
	;; [unrolled: 1-line block ×3, first 2 shown]
	v_fma_f16 v6, -0.5, v60, v4
	v_fmac_f16_e32 v28, -0.5, v63
	v_sub_f16_e32 v15, v15, v16
	v_add_f16_e32 v22, v31, v64
	v_add_f16_e32 v10, v7, v10
	;; [unrolled: 1-line block ×3, first 2 shown]
	v_fmac_f16_e32 v5, -0.5, v67
	v_fmac_f16_e32 v29, -0.5, v73
	v_fmamk_f16 v16, v23, 0x3aee, v18
	v_fmac_f16_e32 v18, 0xbaee, v23
	v_fmamk_f16 v23, v33, 0xbaee, v47
	v_fmac_f16_e32 v47, 0x3aee, v33
	v_add_f16_e32 v8, v34, v8
	v_add_f16_e32 v34, v37, v66
	v_fmamk_f16 v33, v36, 0x3aee, v19
	v_fmac_f16_e32 v19, 0xbaee, v36
	v_fmamk_f16 v36, v39, 0xbaee, v48
	v_fmac_f16_e32 v48, 0x3aee, v39
	v_add_f16_e32 v35, v51, v68
	v_add_f16_e32 v12, v54, v12
	;; [unrolled: 1-line block ×6, first 2 shown]
	v_fmamk_f16 v39, v50, 0x3aee, v20
	v_fmac_f16_e32 v20, 0xbaee, v50
	v_fmamk_f16 v40, v9, 0xbaee, v49
	v_fmac_f16_e32 v49, 0x3aee, v9
	;; [unrolled: 2-line block ×8, first 2 shown]
	v_pack_b32_f16 v13, v17, v22
	v_pack_b32_f16 v16, v16, v23
	;; [unrolled: 1-line block ×18, first 2 shown]
	ds_store_2addr_b32 v41, v13, v16 offset1:48
	ds_store_b32 v41, v17 offset:384
	ds_store_2addr_b32 v44, v8, v18 offset1:48
	ds_store_b32 v44, v19 offset:384
	;; [unrolled: 2-line block ×6, first 2 shown]
	s_waitcnt lgkmcnt(0)
	s_barrier
	buffer_gl0_inv
	ds_load_2addr_b32 v[10:11], v24 offset1:56
	ds_load_2addr_b32 v[22:23], v24 offset0:144 offset1:200
	ds_load_2addr_b32 v[20:21], v25 offset0:32 offset1:88
	;; [unrolled: 1-line block ×6, first 2 shown]
                                        ; implicit-def: $vgpr33
                                        ; implicit-def: $vgpr8
                                        ; implicit-def: $vgpr36
                                        ; implicit-def: $vgpr35
                                        ; implicit-def: $vgpr34
	s_and_saveexec_b32 s1, s0
	s_cbranch_execz .LBB0_19
; %bb.18:
	v_add_nc_u32_e32 v4, 0x100, v24
	v_add_nc_u32_e32 v5, 0x600, v24
	ds_load_2addr_b32 v[8:9], v30 offset0:48 offset1:192
	ds_load_2addr_b32 v[6:7], v4 offset0:48 offset1:192
	;; [unrolled: 1-line block ×3, first 2 shown]
	ds_load_b32 v35, v24 offset:3904
	s_waitcnt lgkmcnt(3)
	v_lshrrev_b32_e32 v33, 16, v8
	v_lshrrev_b32_e32 v34, 16, v9
	s_waitcnt lgkmcnt(2)
	v_lshrrev_b32_e32 v28, 16, v6
	v_lshrrev_b32_e32 v31, 16, v7
	;; [unrolled: 3-line block ×3, first 2 shown]
	s_waitcnt lgkmcnt(0)
	v_lshrrev_b32_e32 v36, 16, v35
.LBB0_19:
	s_or_b32 exec_lo, exec_lo, s1
	v_mul_u32_u24_e32 v37, 6, v0
	s_waitcnt lgkmcnt(1)
	v_lshrrev_b32_e32 v53, 16, v15
	s_waitcnt lgkmcnt(0)
	v_lshrrev_b32_e32 v54, 16, v13
	v_lshrrev_b32_e32 v55, 16, v21
	;; [unrolled: 1-line block ×3, first 2 shown]
	v_lshlrev_b32_e32 v47, 2, v37
	v_lshrrev_b32_e32 v57, 16, v12
	v_lshrrev_b32_e32 v58, 16, v14
	;; [unrolled: 1-line block ×4, first 2 shown]
	s_clause 0x3
	global_load_b128 v[37:40], v47, s[4:5] offset:568
	global_load_b64 v[45:46], v47, s[4:5] offset:584
	global_load_b128 v[41:44], v47, s[4:5] offset:1912
	global_load_b64 v[47:48], v47, s[4:5] offset:1928
	v_lshrrev_b32_e32 v61, 16, v20
	v_lshrrev_b32_e32 v62, 16, v22
	;; [unrolled: 1-line block ×6, first 2 shown]
	s_waitcnt vmcnt(0)
	s_barrier
	buffer_gl0_inv
	v_lshrrev_b32_e32 v63, 16, v37
	v_lshrrev_b32_e32 v64, 16, v38
	;; [unrolled: 1-line block ×12, first 2 shown]
	v_mul_f16_e32 v75, v63, v62
	v_mul_f16_e32 v63, v63, v22
	;; [unrolled: 1-line block ×24, first 2 shown]
	v_fma_f16 v22, v37, v22, -v75
	v_fmac_f16_e32 v63, v37, v62
	v_fma_f16 v20, v38, v20, -v76
	v_fmac_f16_e32 v64, v38, v61
	;; [unrolled: 2-line block ×12, first 2 shown]
	v_add_f16_e32 v37, v22, v12
	v_add_f16_e32 v38, v63, v68
	v_sub_f16_e32 v12, v22, v12
	v_sub_f16_e32 v22, v63, v68
	v_add_f16_e32 v39, v20, v14
	v_add_f16_e32 v40, v64, v67
	v_sub_f16_e32 v14, v20, v14
	v_sub_f16_e32 v20, v64, v67
	;; [unrolled: 4-line block ×3, first 2 shown]
	v_add_f16_e32 v43, v23, v13
	v_add_f16_e32 v44, v69, v74
	;; [unrolled: 1-line block ×4, first 2 shown]
	v_sub_f16_e32 v13, v23, v13
	v_sub_f16_e32 v23, v69, v74
	v_sub_f16_e32 v15, v21, v15
	v_sub_f16_e32 v21, v70, v73
	v_add_f16_e32 v47, v19, v17
	v_add_f16_e32 v48, v71, v72
	v_sub_f16_e32 v17, v17, v19
	v_sub_f16_e32 v19, v72, v71
	v_add_f16_e32 v51, v39, v37
	v_add_f16_e32 v52, v40, v38
	v_sub_f16_e32 v53, v39, v37
	v_sub_f16_e32 v54, v40, v38
	;; [unrolled: 1-line block ×6, first 2 shown]
	v_add_f16_e32 v55, v16, v14
	v_add_f16_e32 v56, v18, v20
	v_sub_f16_e32 v57, v16, v14
	v_sub_f16_e32 v58, v18, v20
	;; [unrolled: 1-line block ×4, first 2 shown]
	v_add_f16_e32 v59, v45, v43
	v_add_f16_e32 v60, v46, v44
	v_sub_f16_e32 v16, v12, v16
	v_sub_f16_e32 v18, v22, v18
	;; [unrolled: 1-line block ×8, first 2 shown]
	v_add_f16_e32 v63, v17, v15
	v_add_f16_e32 v64, v19, v21
	v_sub_f16_e32 v65, v17, v15
	v_sub_f16_e32 v66, v19, v21
	;; [unrolled: 1-line block ×4, first 2 shown]
	v_add_f16_e32 v41, v41, v51
	v_add_f16_e32 v42, v42, v52
	;; [unrolled: 1-line block ×4, first 2 shown]
	v_mul_f16_e32 v37, 0x3a52, v37
	v_mul_f16_e32 v38, 0x3a52, v38
	;; [unrolled: 1-line block ×8, first 2 shown]
	v_add_f16_e32 v47, v47, v59
	v_add_f16_e32 v48, v48, v60
	v_sub_f16_e32 v17, v13, v17
	v_sub_f16_e32 v19, v23, v19
	v_add_f16_e32 v13, v63, v13
	v_add_f16_e32 v23, v64, v23
	v_mul_f16_e32 v43, 0x3a52, v43
	v_mul_f16_e32 v44, 0x3a52, v44
	;; [unrolled: 1-line block ×6, first 2 shown]
	v_add_f16_e32 v10, v10, v41
	v_add_f16_e32 v49, v49, v42
	v_fmamk_f16 v39, v39, 0x2b26, v37
	v_fmamk_f16 v40, v40, 0x2b26, v38
	v_fma_f16 v51, v53, 0x39e0, -v51
	v_fma_f16 v52, v54, 0x39e0, -v52
	v_fma_f16 v37, v53, 0xb9e0, -v37
	v_fma_f16 v38, v54, 0xb9e0, -v38
	v_fmamk_f16 v53, v16, 0x3574, v55
	v_fmamk_f16 v54, v18, 0x3574, v56
	v_fma_f16 v14, v14, 0x3b00, -v55
	v_fma_f16 v20, v20, 0x3b00, -v56
	;; [unrolled: 1-line block ×4, first 2 shown]
	v_add_f16_e32 v11, v11, v47
	v_add_f16_e32 v50, v50, v48
	v_mul_f16_e32 v59, 0x2b26, v45
	v_mul_f16_e32 v60, 0x2b26, v46
	v_fmamk_f16 v45, v45, 0x2b26, v43
	v_fmamk_f16 v46, v46, 0x2b26, v44
	;; [unrolled: 1-line block ×4, first 2 shown]
	v_fma_f16 v15, v15, 0x3b00, -v63
	v_fma_f16 v21, v21, 0x3b00, -v64
	;; [unrolled: 1-line block ×4, first 2 shown]
	v_fmamk_f16 v41, v41, 0xbcab, v10
	v_fmamk_f16 v42, v42, 0xbcab, v49
	v_fmac_f16_e32 v53, 0x370e, v12
	v_fmac_f16_e32 v54, 0x370e, v22
	;; [unrolled: 1-line block ×6, first 2 shown]
	v_fmamk_f16 v12, v47, 0xbcab, v11
	v_fmamk_f16 v22, v48, 0xbcab, v50
	v_fma_f16 v55, v61, 0x39e0, -v59
	v_fma_f16 v56, v62, 0x39e0, -v60
	;; [unrolled: 1-line block ×4, first 2 shown]
	v_fmac_f16_e32 v57, 0x370e, v13
	v_fmac_f16_e32 v58, 0x370e, v23
	;; [unrolled: 1-line block ×6, first 2 shown]
	v_pack_b32_f16 v10, v10, v49
	v_pack_b32_f16 v11, v11, v50
	v_add_f16_e32 v13, v39, v41
	v_add_f16_e32 v23, v40, v42
	;; [unrolled: 1-line block ×12, first 2 shown]
	ds_store_2addr_b32 v24, v10, v11 offset1:56
	v_add_f16_e32 v10, v54, v13
	v_sub_f16_e32 v11, v23, v53
	v_add_f16_e32 v43, v18, v37
	v_sub_f16_e32 v44, v38, v16
	v_sub_f16_e32 v18, v37, v18
	v_add_f16_e32 v16, v16, v38
	v_add_f16_e32 v37, v58, v41
	v_sub_f16_e32 v38, v42, v57
	v_sub_f16_e32 v47, v39, v20
	v_add_f16_e32 v48, v14, v40
	v_add_f16_e32 v20, v20, v39
	v_sub_f16_e32 v14, v40, v14
	v_add_f16_e32 v39, v19, v12
	v_sub_f16_e32 v40, v22, v17
	v_sub_f16_e32 v13, v13, v54
	v_add_f16_e32 v23, v53, v23
	v_sub_f16_e32 v49, v45, v21
	v_add_f16_e32 v50, v15, v46
	v_add_f16_e32 v21, v21, v45
	v_sub_f16_e32 v15, v46, v15
	v_sub_f16_e32 v12, v12, v19
	v_add_f16_e32 v17, v17, v22
	v_sub_f16_e32 v19, v41, v58
	v_add_f16_e32 v22, v57, v42
	v_pack_b32_f16 v10, v10, v11
	v_pack_b32_f16 v16, v18, v16
	;; [unrolled: 1-line block ×12, first 2 shown]
	ds_store_2addr_b32 v24, v10, v18 offset0:144 offset1:200
	ds_store_2addr_b32 v25, v11, v20 offset0:32 offset1:88
	;; [unrolled: 1-line block ×6, first 2 shown]
	s_and_saveexec_b32 s1, s0
	s_cbranch_execz .LBB0_21
; %bb.20:
	v_subrev_nc_u32_e32 v10, 32, v0
	v_dual_mov_b32 v11, 0 :: v_dual_add_nc_u32 v16, 0x600, v24
	v_add_nc_u32_e32 v17, 0xa00, v24
	s_delay_alu instid0(VALU_DEP_3) | instskip(NEXT) | instid1(VALU_DEP_1)
	v_cndmask_b32_e64 v1, v10, v1, s0
	v_mul_i32_i24_e32 v10, 6, v1
	v_add_nc_u32_e32 v1, 0x100, v24
	s_delay_alu instid0(VALU_DEP_2) | instskip(NEXT) | instid1(VALU_DEP_1)
	v_lshlrev_b64 v[10:11], 2, v[10:11]
	v_add_co_u32 v14, s0, s4, v10
	s_delay_alu instid0(VALU_DEP_1)
	v_add_co_ci_u32_e64 v15, s0, s5, v11, s0
	s_clause 0x1
	global_load_b128 v[10:13], v[14:15], off offset:568
	global_load_b64 v[14:15], v[14:15], off offset:584
	s_waitcnt vmcnt(1)
	v_lshrrev_b32_e32 v18, 16, v10
	v_lshrrev_b32_e32 v19, 16, v11
	s_waitcnt vmcnt(0)
	v_lshrrev_b32_e32 v20, 16, v15
	v_lshrrev_b32_e32 v23, 16, v14
	;; [unrolled: 1-line block ×4, first 2 shown]
	v_mul_f16_e32 v25, v31, v18
	v_mul_f16_e32 v26, v36, v20
	;; [unrolled: 1-line block ×12, first 2 shown]
	v_fma_f16 v7, v7, v10, -v25
	v_fma_f16 v25, v35, v15, -v26
	;; [unrolled: 1-line block ×4, first 2 shown]
	v_fmac_f16_e32 v20, v36, v15
	v_fmac_f16_e32 v18, v31, v10
	;; [unrolled: 1-line block ×4, first 2 shown]
	v_fma_f16 v8, v8, v13, -v27
	v_fma_f16 v5, v5, v12, -v30
	v_fmac_f16_e32 v22, v29, v12
	v_fmac_f16_e32 v21, v33, v13
	v_sub_f16_e32 v10, v7, v25
	v_sub_f16_e32 v12, v4, v9
	v_add_f16_e32 v13, v18, v20
	v_add_f16_e32 v15, v19, v23
	;; [unrolled: 1-line block ×4, first 2 shown]
	v_sub_f16_e32 v11, v8, v5
	v_add_f16_e32 v14, v22, v21
	v_add_f16_e32 v5, v5, v8
	v_sub_f16_e32 v8, v18, v20
	v_sub_f16_e32 v9, v21, v22
	;; [unrolled: 1-line block ×3, first 2 shown]
	v_add_f16_e32 v23, v15, v13
	v_add_f16_e32 v27, v4, v7
	v_sub_f16_e32 v19, v10, v11
	v_sub_f16_e32 v20, v11, v12
	v_add_f16_e32 v11, v11, v12
	v_sub_f16_e32 v21, v13, v14
	v_sub_f16_e32 v22, v14, v15
	;; [unrolled: 1-line block ×6, first 2 shown]
	v_add_f16_e32 v9, v9, v18
	v_sub_f16_e32 v12, v12, v10
	v_sub_f16_e32 v4, v4, v7
	;; [unrolled: 1-line block ×3, first 2 shown]
	v_add_f16_e32 v14, v14, v23
	v_add_f16_e32 v5, v5, v27
	v_sub_f16_e32 v13, v15, v13
	v_mul_f16_e32 v15, 0xb846, v20
	v_add_f16_e32 v10, v11, v10
	v_mul_f16_e32 v11, 0x3a52, v21
	v_mul_f16_e32 v20, 0x3a52, v25
	;; [unrolled: 1-line block ×3, first 2 shown]
	v_add_f16_e32 v8, v9, v8
	v_mul_f16_e32 v9, 0x3b00, v12
	v_mul_f16_e32 v25, 0x3b00, v7
	v_add_f16_e32 v28, v28, v14
	v_add_f16_e32 v6, v6, v5
	v_mul_f16_e32 v18, 0x2b26, v22
	v_mul_f16_e32 v21, 0x2b26, v26
	v_fmamk_f16 v27, v19, 0x3574, v15
	v_fmamk_f16 v22, v22, 0x2b26, v11
	;; [unrolled: 1-line block ×4, first 2 shown]
	v_fma_f16 v9, v19, 0xb574, -v9
	v_fma_f16 v19, v4, 0xb9e0, -v20
	;; [unrolled: 1-line block ×5, first 2 shown]
	v_fmamk_f16 v14, v14, 0xbcab, v28
	v_fmamk_f16 v5, v5, 0xbcab, v6
	v_fma_f16 v11, v13, 0xb9e0, -v11
	v_fma_f16 v13, v13, 0x39e0, -v18
	;; [unrolled: 1-line block ×3, first 2 shown]
	v_fmac_f16_e32 v27, 0x370e, v10
	v_fmac_f16_e32 v30, 0x370e, v8
	;; [unrolled: 1-line block ×6, first 2 shown]
	v_add_f16_e32 v8, v22, v14
	v_add_f16_e32 v10, v26, v5
	;; [unrolled: 1-line block ×7, first 2 shown]
	v_sub_f16_e32 v14, v10, v30
	v_sub_f16_e32 v8, v8, v27
	v_add_f16_e32 v10, v30, v10
	v_add_f16_e32 v18, v9, v11
	v_sub_f16_e32 v19, v13, v12
	v_add_f16_e32 v12, v12, v13
	v_sub_f16_e32 v9, v11, v9
	;; [unrolled: 2-line block ×4, first 2 shown]
	v_pack_b32_f16 v6, v6, v28
	v_pack_b32_f16 v8, v10, v8
	;; [unrolled: 1-line block ×7, first 2 shown]
	ds_store_2addr_b32 v1, v6, v8 offset0:48 offset1:192
	ds_store_2addr_b32 v16, v9, v10 offset0:16 offset1:160
	;; [unrolled: 1-line block ×3, first 2 shown]
	ds_store_b32 v24, v5 offset:3904
.LBB0_21:
	s_or_b32 exec_lo, exec_lo, s1
	s_waitcnt lgkmcnt(0)
	s_barrier
	buffer_gl0_inv
	s_and_saveexec_b32 s0, vcc_lo
	s_cbranch_execz .LBB0_23
; %bb.22:
	v_dual_mov_b32 v1, 0 :: v_dual_add_nc_u32 v4, 56, v0
	v_add_co_u32 v30, vcc_lo, s8, v2
	v_add_co_ci_u32_e32 v31, vcc_lo, s9, v3, vcc_lo
	s_delay_alu instid0(VALU_DEP_3) | instskip(SKIP_3) | instid1(VALU_DEP_4)
	v_dual_mov_b32 v5, v1 :: v_dual_add_nc_u32 v8, 0x70, v0
	v_lshlrev_b64 v[2:3], 2, v[0:1]
	v_dual_mov_b32 v9, v1 :: v_dual_add_nc_u32 v10, 0xa8, v0
	v_lshl_add_u32 v28, v0, 2, 0
	v_lshlrev_b64 v[4:5], 2, v[4:5]
	v_dual_mov_b32 v11, v1 :: v_dual_add_nc_u32 v14, 0xe0, v0
	v_add_co_u32 v2, vcc_lo, v30, v2
	v_lshlrev_b64 v[8:9], 2, v[8:9]
	v_dual_mov_b32 v15, v1 :: v_dual_add_nc_u32 v16, 0x200, v28
	v_add_co_ci_u32_e32 v3, vcc_lo, v31, v3, vcc_lo
	ds_load_2addr_b32 v[6:7], v28 offset1:56
	v_add_co_u32 v4, vcc_lo, v30, v4
	v_lshlrev_b64 v[10:11], 2, v[10:11]
	v_dual_mov_b32 v19, v1 :: v_dual_add_nc_u32 v18, 0x118, v0
	v_add_nc_u32_e32 v29, 0x400, v28
	v_add_co_ci_u32_e32 v5, vcc_lo, v31, v5, vcc_lo
	ds_load_2addr_b32 v[12:13], v28 offset0:112 offset1:168
	v_add_co_u32 v8, vcc_lo, v30, v8
	v_lshlrev_b64 v[14:15], 2, v[14:15]
	ds_load_2addr_b32 v[16:17], v16 offset0:96 offset1:152
	v_dual_mov_b32 v21, v1 :: v_dual_add_nc_u32 v20, 0x150, v0
	v_add_co_ci_u32_e32 v9, vcc_lo, v31, v9, vcc_lo
	v_add_co_u32 v10, vcc_lo, v30, v10
	v_lshlrev_b64 v[18:19], 2, v[18:19]
	ds_load_2addr_b32 v[22:23], v29 offset0:80 offset1:136
	v_dual_mov_b32 v25, v1 :: v_dual_add_nc_u32 v24, 0x188, v0
	v_add_co_ci_u32_e32 v11, vcc_lo, v31, v11, vcc_lo
	v_add_co_u32 v14, vcc_lo, v30, v14
	v_lshlrev_b64 v[20:21], 2, v[20:21]
	v_add_co_ci_u32_e32 v15, vcc_lo, v31, v15, vcc_lo
	v_add_co_u32 v18, vcc_lo, v30, v18
	v_lshlrev_b64 v[24:25], 2, v[24:25]
	v_add_co_ci_u32_e32 v19, vcc_lo, v31, v19, vcc_lo
	v_add_co_u32 v20, vcc_lo, v30, v20
	v_add_co_ci_u32_e32 v21, vcc_lo, v31, v21, vcc_lo
	v_dual_mov_b32 v27, v1 :: v_dual_add_nc_u32 v26, 0x1c0, v0
	v_add_co_u32 v24, vcc_lo, v30, v24
	v_add_co_ci_u32_e32 v25, vcc_lo, v31, v25, vcc_lo
	s_waitcnt lgkmcnt(3)
	s_clause 0x1
	global_store_b32 v[2:3], v6, off
	global_store_b32 v[4:5], v7, off
	s_waitcnt lgkmcnt(2)
	s_clause 0x1
	global_store_b32 v[8:9], v12, off
	global_store_b32 v[10:11], v13, off
	s_waitcnt lgkmcnt(1)
	s_clause 0x1
	global_store_b32 v[14:15], v16, off
	global_store_b32 v[18:19], v17, off
	s_waitcnt lgkmcnt(0)
	s_clause 0x1
	global_store_b32 v[20:21], v22, off
	global_store_b32 v[24:25], v23, off
	v_dual_mov_b32 v5, v1 :: v_dual_add_nc_u32 v4, 0x1f8, v0
	v_lshlrev_b64 v[26:27], 2, v[26:27]
	v_dual_mov_b32 v9, v1 :: v_dual_add_nc_u32 v8, 0x230, v0
	v_dual_mov_b32 v11, v1 :: v_dual_add_nc_u32 v16, 0x800, v28
	s_delay_alu instid0(VALU_DEP_4)
	v_lshlrev_b64 v[4:5], 2, v[4:5]
	v_dual_mov_b32 v15, v1 :: v_dual_add_nc_u32 v10, 0x268, v0
	v_add_co_u32 v6, vcc_lo, v30, v26
	v_lshlrev_b64 v[8:9], 2, v[8:9]
	v_dual_mov_b32 v19, v1 :: v_dual_add_nc_u32 v14, 0x2a0, v0
	v_add_co_ci_u32_e32 v7, vcc_lo, v31, v27, vcc_lo
	v_add_co_u32 v4, vcc_lo, v30, v4
	v_lshlrev_b64 v[10:11], 2, v[10:11]
	v_dual_mov_b32 v21, v1 :: v_dual_add_nc_u32 v18, 0x2d8, v0
	v_add_co_ci_u32_e32 v5, vcc_lo, v31, v5, vcc_lo
	;; [unrolled: 4-line block ×3, first 2 shown]
	ds_load_2addr_b32 v[2:3], v29 offset0:192 offset1:248
	v_add_co_u32 v10, vcc_lo, v30, v10
	v_lshlrev_b64 v[18:19], 2, v[18:19]
	v_dual_mov_b32 v27, v1 :: v_dual_add_nc_u32 v28, 0xc00, v28
	v_add_nc_u32_e32 v22, 0x348, v0
	ds_load_2addr_b32 v[12:13], v16 offset0:48 offset1:104
	v_add_co_ci_u32_e32 v11, vcc_lo, v31, v11, vcc_lo
	v_add_co_u32 v14, vcc_lo, v30, v14
	v_lshlrev_b64 v[20:21], 2, v[20:21]
	ds_load_2addr_b32 v[16:17], v16 offset0:160 offset1:216
	v_add_nc_u32_e32 v26, 0x380, v0
	v_add_co_ci_u32_e32 v15, vcc_lo, v31, v15, vcc_lo
	v_add_co_u32 v18, vcc_lo, v30, v18
	ds_load_2addr_b32 v[24:25], v28 offset0:16 offset1:72
	v_lshlrev_b64 v[22:23], 2, v[22:23]
	v_add_nc_u32_e32 v0, 0x3b8, v0
	v_add_co_ci_u32_e32 v19, vcc_lo, v31, v19, vcc_lo
	ds_load_2addr_b32 v[28:29], v28 offset0:128 offset1:184
	v_add_co_u32 v20, vcc_lo, v30, v20
	v_lshlrev_b64 v[26:27], 2, v[26:27]
	v_add_co_ci_u32_e32 v21, vcc_lo, v31, v21, vcc_lo
	v_add_co_u32 v22, vcc_lo, v30, v22
	v_lshlrev_b64 v[0:1], 2, v[0:1]
	v_add_co_ci_u32_e32 v23, vcc_lo, v31, v23, vcc_lo
	v_add_co_u32 v26, vcc_lo, v30, v26
	v_add_co_ci_u32_e32 v27, vcc_lo, v31, v27, vcc_lo
	s_delay_alu instid0(VALU_DEP_4)
	v_add_co_u32 v0, vcc_lo, v30, v0
	v_add_co_ci_u32_e32 v1, vcc_lo, v31, v1, vcc_lo
	s_waitcnt lgkmcnt(4)
	s_clause 0x1
	global_store_b32 v[6:7], v2, off
	global_store_b32 v[4:5], v3, off
	s_waitcnt lgkmcnt(3)
	s_clause 0x1
	global_store_b32 v[8:9], v12, off
	global_store_b32 v[10:11], v13, off
	;; [unrolled: 4-line block ×5, first 2 shown]
.LBB0_23:
	s_nop 0
	s_sendmsg sendmsg(MSG_DEALLOC_VGPRS)
	s_endpgm
	.section	.rodata,"a",@progbits
	.p2align	6, 0x0
	.amdhsa_kernel fft_rtc_fwd_len1008_factors_2_2_2_2_3_3_7_wgs_56_tpt_56_halfLds_half_ip_CI_unitstride_sbrr_C2R_dirReg
		.amdhsa_group_segment_fixed_size 0
		.amdhsa_private_segment_fixed_size 0
		.amdhsa_kernarg_size 88
		.amdhsa_user_sgpr_count 15
		.amdhsa_user_sgpr_dispatch_ptr 0
		.amdhsa_user_sgpr_queue_ptr 0
		.amdhsa_user_sgpr_kernarg_segment_ptr 1
		.amdhsa_user_sgpr_dispatch_id 0
		.amdhsa_user_sgpr_private_segment_size 0
		.amdhsa_wavefront_size32 1
		.amdhsa_uses_dynamic_stack 0
		.amdhsa_enable_private_segment 0
		.amdhsa_system_sgpr_workgroup_id_x 1
		.amdhsa_system_sgpr_workgroup_id_y 0
		.amdhsa_system_sgpr_workgroup_id_z 0
		.amdhsa_system_sgpr_workgroup_info 0
		.amdhsa_system_vgpr_workitem_id 0
		.amdhsa_next_free_vgpr 93
		.amdhsa_next_free_sgpr 21
		.amdhsa_reserve_vcc 1
		.amdhsa_float_round_mode_32 0
		.amdhsa_float_round_mode_16_64 0
		.amdhsa_float_denorm_mode_32 3
		.amdhsa_float_denorm_mode_16_64 3
		.amdhsa_dx10_clamp 1
		.amdhsa_ieee_mode 1
		.amdhsa_fp16_overflow 0
		.amdhsa_workgroup_processor_mode 1
		.amdhsa_memory_ordered 1
		.amdhsa_forward_progress 0
		.amdhsa_shared_vgpr_count 0
		.amdhsa_exception_fp_ieee_invalid_op 0
		.amdhsa_exception_fp_denorm_src 0
		.amdhsa_exception_fp_ieee_div_zero 0
		.amdhsa_exception_fp_ieee_overflow 0
		.amdhsa_exception_fp_ieee_underflow 0
		.amdhsa_exception_fp_ieee_inexact 0
		.amdhsa_exception_int_div_zero 0
	.end_amdhsa_kernel
	.text
.Lfunc_end0:
	.size	fft_rtc_fwd_len1008_factors_2_2_2_2_3_3_7_wgs_56_tpt_56_halfLds_half_ip_CI_unitstride_sbrr_C2R_dirReg, .Lfunc_end0-fft_rtc_fwd_len1008_factors_2_2_2_2_3_3_7_wgs_56_tpt_56_halfLds_half_ip_CI_unitstride_sbrr_C2R_dirReg
                                        ; -- End function
	.section	.AMDGPU.csdata,"",@progbits
; Kernel info:
; codeLenInByte = 13004
; NumSgprs: 23
; NumVgprs: 93
; ScratchSize: 0
; MemoryBound: 0
; FloatMode: 240
; IeeeMode: 1
; LDSByteSize: 0 bytes/workgroup (compile time only)
; SGPRBlocks: 2
; VGPRBlocks: 11
; NumSGPRsForWavesPerEU: 23
; NumVGPRsForWavesPerEU: 93
; Occupancy: 16
; WaveLimiterHint : 1
; COMPUTE_PGM_RSRC2:SCRATCH_EN: 0
; COMPUTE_PGM_RSRC2:USER_SGPR: 15
; COMPUTE_PGM_RSRC2:TRAP_HANDLER: 0
; COMPUTE_PGM_RSRC2:TGID_X_EN: 1
; COMPUTE_PGM_RSRC2:TGID_Y_EN: 0
; COMPUTE_PGM_RSRC2:TGID_Z_EN: 0
; COMPUTE_PGM_RSRC2:TIDIG_COMP_CNT: 0
	.text
	.p2alignl 7, 3214868480
	.fill 96, 4, 3214868480
	.type	__hip_cuid_21d24883597ccc47,@object ; @__hip_cuid_21d24883597ccc47
	.section	.bss,"aw",@nobits
	.globl	__hip_cuid_21d24883597ccc47
__hip_cuid_21d24883597ccc47:
	.byte	0                               ; 0x0
	.size	__hip_cuid_21d24883597ccc47, 1

	.ident	"AMD clang version 19.0.0git (https://github.com/RadeonOpenCompute/llvm-project roc-6.4.0 25133 c7fe45cf4b819c5991fe208aaa96edf142730f1d)"
	.section	".note.GNU-stack","",@progbits
	.addrsig
	.addrsig_sym __hip_cuid_21d24883597ccc47
	.amdgpu_metadata
---
amdhsa.kernels:
  - .args:
      - .actual_access:  read_only
        .address_space:  global
        .offset:         0
        .size:           8
        .value_kind:     global_buffer
      - .offset:         8
        .size:           8
        .value_kind:     by_value
      - .actual_access:  read_only
        .address_space:  global
        .offset:         16
        .size:           8
        .value_kind:     global_buffer
      - .actual_access:  read_only
        .address_space:  global
        .offset:         24
        .size:           8
        .value_kind:     global_buffer
      - .offset:         32
        .size:           8
        .value_kind:     by_value
      - .actual_access:  read_only
        .address_space:  global
        .offset:         40
        .size:           8
        .value_kind:     global_buffer
      - .actual_access:  read_only
        .address_space:  global
        .offset:         48
        .size:           8
        .value_kind:     global_buffer
      - .offset:         56
        .size:           4
        .value_kind:     by_value
      - .actual_access:  read_only
        .address_space:  global
        .offset:         64
        .size:           8
        .value_kind:     global_buffer
      - .actual_access:  read_only
        .address_space:  global
        .offset:         72
        .size:           8
        .value_kind:     global_buffer
      - .address_space:  global
        .offset:         80
        .size:           8
        .value_kind:     global_buffer
    .group_segment_fixed_size: 0
    .kernarg_segment_align: 8
    .kernarg_segment_size: 88
    .language:       OpenCL C
    .language_version:
      - 2
      - 0
    .max_flat_workgroup_size: 56
    .name:           fft_rtc_fwd_len1008_factors_2_2_2_2_3_3_7_wgs_56_tpt_56_halfLds_half_ip_CI_unitstride_sbrr_C2R_dirReg
    .private_segment_fixed_size: 0
    .sgpr_count:     23
    .sgpr_spill_count: 0
    .symbol:         fft_rtc_fwd_len1008_factors_2_2_2_2_3_3_7_wgs_56_tpt_56_halfLds_half_ip_CI_unitstride_sbrr_C2R_dirReg.kd
    .uniform_work_group_size: 1
    .uses_dynamic_stack: false
    .vgpr_count:     93
    .vgpr_spill_count: 0
    .wavefront_size: 32
    .workgroup_processor_mode: 1
amdhsa.target:   amdgcn-amd-amdhsa--gfx1100
amdhsa.version:
  - 1
  - 2
...

	.end_amdgpu_metadata
